;; amdgpu-corpus repo=ROCm/rocFFT kind=compiled arch=gfx1100 opt=O3
	.text
	.amdgcn_target "amdgcn-amd-amdhsa--gfx1100"
	.amdhsa_code_object_version 6
	.protected	fft_rtc_fwd_len3750_factors_3_5_5_10_5_wgs_125_tpt_125_halfLds_dp_ip_CI_sbrr_dirReg ; -- Begin function fft_rtc_fwd_len3750_factors_3_5_5_10_5_wgs_125_tpt_125_halfLds_dp_ip_CI_sbrr_dirReg
	.globl	fft_rtc_fwd_len3750_factors_3_5_5_10_5_wgs_125_tpt_125_halfLds_dp_ip_CI_sbrr_dirReg
	.p2align	8
	.type	fft_rtc_fwd_len3750_factors_3_5_5_10_5_wgs_125_tpt_125_halfLds_dp_ip_CI_sbrr_dirReg,@function
fft_rtc_fwd_len3750_factors_3_5_5_10_5_wgs_125_tpt_125_halfLds_dp_ip_CI_sbrr_dirReg: ; @fft_rtc_fwd_len3750_factors_3_5_5_10_5_wgs_125_tpt_125_halfLds_dp_ip_CI_sbrr_dirReg
; %bb.0:
	s_clause 0x2
	s_load_b64 s[12:13], s[0:1], 0x18
	s_load_b128 s[4:7], s[0:1], 0x0
	s_load_b64 s[10:11], s[0:1], 0x50
	v_mul_u32_u24_e32 v1, 0x20d, v0
	v_mov_b32_e32 v3, 0
	v_mov_b32_e32 v4, 0
	s_delay_alu instid0(VALU_DEP_3) | instskip(SKIP_1) | instid1(VALU_DEP_1)
	v_lshrrev_b32_e32 v2, 16, v1
	v_mov_b32_e32 v1, 0
	v_dual_mov_b32 v6, v1 :: v_dual_add_nc_u32 v5, s15, v2
	s_waitcnt lgkmcnt(0)
	s_load_b64 s[8:9], s[12:13], 0x0
	v_cmp_lt_u64_e64 s2, s[6:7], 2
	s_delay_alu instid0(VALU_DEP_1)
	s_and_b32 vcc_lo, exec_lo, s2
	s_cbranch_vccnz .LBB0_8
; %bb.1:
	s_load_b64 s[2:3], s[0:1], 0x10
	v_mov_b32_e32 v3, 0
	s_add_u32 s14, s12, 8
	v_mov_b32_e32 v4, 0
	s_addc_u32 s15, s13, 0
	s_mov_b64 s[18:19], 1
	s_waitcnt lgkmcnt(0)
	s_add_u32 s16, s2, 8
	s_addc_u32 s17, s3, 0
.LBB0_2:                                ; =>This Inner Loop Header: Depth=1
	s_load_b64 s[20:21], s[16:17], 0x0
                                        ; implicit-def: $vgpr7_vgpr8
	s_mov_b32 s2, exec_lo
	s_waitcnt lgkmcnt(0)
	v_or_b32_e32 v2, s21, v6
	s_delay_alu instid0(VALU_DEP_1)
	v_cmpx_ne_u64_e32 0, v[1:2]
	s_xor_b32 s3, exec_lo, s2
	s_cbranch_execz .LBB0_4
; %bb.3:                                ;   in Loop: Header=BB0_2 Depth=1
	v_cvt_f32_u32_e32 v2, s20
	v_cvt_f32_u32_e32 v7, s21
	s_sub_u32 s2, 0, s20
	s_subb_u32 s22, 0, s21
	s_delay_alu instid0(VALU_DEP_1) | instskip(NEXT) | instid1(VALU_DEP_1)
	v_fmac_f32_e32 v2, 0x4f800000, v7
	v_rcp_f32_e32 v2, v2
	s_waitcnt_depctr 0xfff
	v_mul_f32_e32 v2, 0x5f7ffffc, v2
	s_delay_alu instid0(VALU_DEP_1) | instskip(NEXT) | instid1(VALU_DEP_1)
	v_mul_f32_e32 v7, 0x2f800000, v2
	v_trunc_f32_e32 v7, v7
	s_delay_alu instid0(VALU_DEP_1) | instskip(SKIP_1) | instid1(VALU_DEP_2)
	v_fmac_f32_e32 v2, 0xcf800000, v7
	v_cvt_u32_f32_e32 v7, v7
	v_cvt_u32_f32_e32 v2, v2
	s_delay_alu instid0(VALU_DEP_2) | instskip(NEXT) | instid1(VALU_DEP_2)
	v_mul_lo_u32 v8, s2, v7
	v_mul_hi_u32 v9, s2, v2
	v_mul_lo_u32 v10, s22, v2
	s_delay_alu instid0(VALU_DEP_2) | instskip(SKIP_1) | instid1(VALU_DEP_2)
	v_add_nc_u32_e32 v8, v9, v8
	v_mul_lo_u32 v9, s2, v2
	v_add_nc_u32_e32 v8, v8, v10
	s_delay_alu instid0(VALU_DEP_2) | instskip(NEXT) | instid1(VALU_DEP_2)
	v_mul_hi_u32 v10, v2, v9
	v_mul_lo_u32 v11, v2, v8
	v_mul_hi_u32 v12, v2, v8
	v_mul_hi_u32 v13, v7, v9
	v_mul_lo_u32 v9, v7, v9
	v_mul_hi_u32 v14, v7, v8
	v_mul_lo_u32 v8, v7, v8
	v_add_co_u32 v10, vcc_lo, v10, v11
	v_add_co_ci_u32_e32 v11, vcc_lo, 0, v12, vcc_lo
	s_delay_alu instid0(VALU_DEP_2) | instskip(NEXT) | instid1(VALU_DEP_2)
	v_add_co_u32 v9, vcc_lo, v10, v9
	v_add_co_ci_u32_e32 v9, vcc_lo, v11, v13, vcc_lo
	v_add_co_ci_u32_e32 v10, vcc_lo, 0, v14, vcc_lo
	s_delay_alu instid0(VALU_DEP_2) | instskip(NEXT) | instid1(VALU_DEP_2)
	v_add_co_u32 v8, vcc_lo, v9, v8
	v_add_co_ci_u32_e32 v9, vcc_lo, 0, v10, vcc_lo
	s_delay_alu instid0(VALU_DEP_2) | instskip(NEXT) | instid1(VALU_DEP_2)
	v_add_co_u32 v2, vcc_lo, v2, v8
	v_add_co_ci_u32_e32 v7, vcc_lo, v7, v9, vcc_lo
	s_delay_alu instid0(VALU_DEP_2) | instskip(SKIP_1) | instid1(VALU_DEP_3)
	v_mul_hi_u32 v8, s2, v2
	v_mul_lo_u32 v10, s22, v2
	v_mul_lo_u32 v9, s2, v7
	s_delay_alu instid0(VALU_DEP_1) | instskip(SKIP_1) | instid1(VALU_DEP_2)
	v_add_nc_u32_e32 v8, v8, v9
	v_mul_lo_u32 v9, s2, v2
	v_add_nc_u32_e32 v8, v8, v10
	s_delay_alu instid0(VALU_DEP_2) | instskip(NEXT) | instid1(VALU_DEP_2)
	v_mul_hi_u32 v10, v2, v9
	v_mul_lo_u32 v11, v2, v8
	v_mul_hi_u32 v12, v2, v8
	v_mul_hi_u32 v13, v7, v9
	v_mul_lo_u32 v9, v7, v9
	v_mul_hi_u32 v14, v7, v8
	v_mul_lo_u32 v8, v7, v8
	v_add_co_u32 v10, vcc_lo, v10, v11
	v_add_co_ci_u32_e32 v11, vcc_lo, 0, v12, vcc_lo
	s_delay_alu instid0(VALU_DEP_2) | instskip(NEXT) | instid1(VALU_DEP_2)
	v_add_co_u32 v9, vcc_lo, v10, v9
	v_add_co_ci_u32_e32 v9, vcc_lo, v11, v13, vcc_lo
	v_add_co_ci_u32_e32 v10, vcc_lo, 0, v14, vcc_lo
	s_delay_alu instid0(VALU_DEP_2) | instskip(NEXT) | instid1(VALU_DEP_2)
	v_add_co_u32 v8, vcc_lo, v9, v8
	v_add_co_ci_u32_e32 v9, vcc_lo, 0, v10, vcc_lo
	s_delay_alu instid0(VALU_DEP_2) | instskip(NEXT) | instid1(VALU_DEP_2)
	v_add_co_u32 v2, vcc_lo, v2, v8
	v_add_co_ci_u32_e32 v13, vcc_lo, v7, v9, vcc_lo
	s_delay_alu instid0(VALU_DEP_2) | instskip(SKIP_1) | instid1(VALU_DEP_3)
	v_mul_hi_u32 v14, v5, v2
	v_mad_u64_u32 v[9:10], null, v6, v2, 0
	v_mad_u64_u32 v[7:8], null, v5, v13, 0
	;; [unrolled: 1-line block ×3, first 2 shown]
	s_delay_alu instid0(VALU_DEP_2) | instskip(NEXT) | instid1(VALU_DEP_3)
	v_add_co_u32 v2, vcc_lo, v14, v7
	v_add_co_ci_u32_e32 v7, vcc_lo, 0, v8, vcc_lo
	s_delay_alu instid0(VALU_DEP_2) | instskip(NEXT) | instid1(VALU_DEP_2)
	v_add_co_u32 v2, vcc_lo, v2, v9
	v_add_co_ci_u32_e32 v2, vcc_lo, v7, v10, vcc_lo
	v_add_co_ci_u32_e32 v7, vcc_lo, 0, v12, vcc_lo
	s_delay_alu instid0(VALU_DEP_2) | instskip(NEXT) | instid1(VALU_DEP_2)
	v_add_co_u32 v2, vcc_lo, v2, v11
	v_add_co_ci_u32_e32 v9, vcc_lo, 0, v7, vcc_lo
	s_delay_alu instid0(VALU_DEP_2) | instskip(SKIP_1) | instid1(VALU_DEP_3)
	v_mul_lo_u32 v10, s21, v2
	v_mad_u64_u32 v[7:8], null, s20, v2, 0
	v_mul_lo_u32 v11, s20, v9
	s_delay_alu instid0(VALU_DEP_2) | instskip(NEXT) | instid1(VALU_DEP_2)
	v_sub_co_u32 v7, vcc_lo, v5, v7
	v_add3_u32 v8, v8, v11, v10
	s_delay_alu instid0(VALU_DEP_1) | instskip(NEXT) | instid1(VALU_DEP_1)
	v_sub_nc_u32_e32 v10, v6, v8
	v_subrev_co_ci_u32_e64 v10, s2, s21, v10, vcc_lo
	v_add_co_u32 v11, s2, v2, 2
	s_delay_alu instid0(VALU_DEP_1) | instskip(SKIP_3) | instid1(VALU_DEP_3)
	v_add_co_ci_u32_e64 v12, s2, 0, v9, s2
	v_sub_co_u32 v13, s2, v7, s20
	v_sub_co_ci_u32_e32 v8, vcc_lo, v6, v8, vcc_lo
	v_subrev_co_ci_u32_e64 v10, s2, 0, v10, s2
	v_cmp_le_u32_e32 vcc_lo, s20, v13
	s_delay_alu instid0(VALU_DEP_3) | instskip(SKIP_1) | instid1(VALU_DEP_4)
	v_cmp_eq_u32_e64 s2, s21, v8
	v_cndmask_b32_e64 v13, 0, -1, vcc_lo
	v_cmp_le_u32_e32 vcc_lo, s21, v10
	v_cndmask_b32_e64 v14, 0, -1, vcc_lo
	v_cmp_le_u32_e32 vcc_lo, s20, v7
	;; [unrolled: 2-line block ×3, first 2 shown]
	v_cndmask_b32_e64 v15, 0, -1, vcc_lo
	v_cmp_eq_u32_e32 vcc_lo, s21, v10
	s_delay_alu instid0(VALU_DEP_2) | instskip(SKIP_3) | instid1(VALU_DEP_3)
	v_cndmask_b32_e64 v7, v15, v7, s2
	v_cndmask_b32_e32 v10, v14, v13, vcc_lo
	v_add_co_u32 v13, vcc_lo, v2, 1
	v_add_co_ci_u32_e32 v14, vcc_lo, 0, v9, vcc_lo
	v_cmp_ne_u32_e32 vcc_lo, 0, v10
	s_delay_alu instid0(VALU_DEP_2) | instskip(NEXT) | instid1(VALU_DEP_4)
	v_cndmask_b32_e32 v8, v14, v12, vcc_lo
	v_cndmask_b32_e32 v10, v13, v11, vcc_lo
	v_cmp_ne_u32_e32 vcc_lo, 0, v7
	s_delay_alu instid0(VALU_DEP_2)
	v_dual_cndmask_b32 v7, v2, v10 :: v_dual_cndmask_b32 v8, v9, v8
.LBB0_4:                                ;   in Loop: Header=BB0_2 Depth=1
	s_and_not1_saveexec_b32 s2, s3
	s_cbranch_execz .LBB0_6
; %bb.5:                                ;   in Loop: Header=BB0_2 Depth=1
	v_cvt_f32_u32_e32 v2, s20
	s_sub_i32 s3, 0, s20
	s_delay_alu instid0(VALU_DEP_1) | instskip(SKIP_2) | instid1(VALU_DEP_1)
	v_rcp_iflag_f32_e32 v2, v2
	s_waitcnt_depctr 0xfff
	v_mul_f32_e32 v2, 0x4f7ffffe, v2
	v_cvt_u32_f32_e32 v2, v2
	s_delay_alu instid0(VALU_DEP_1) | instskip(NEXT) | instid1(VALU_DEP_1)
	v_mul_lo_u32 v7, s3, v2
	v_mul_hi_u32 v7, v2, v7
	s_delay_alu instid0(VALU_DEP_1) | instskip(NEXT) | instid1(VALU_DEP_1)
	v_add_nc_u32_e32 v2, v2, v7
	v_mul_hi_u32 v2, v5, v2
	s_delay_alu instid0(VALU_DEP_1) | instskip(SKIP_1) | instid1(VALU_DEP_2)
	v_mul_lo_u32 v7, v2, s20
	v_add_nc_u32_e32 v8, 1, v2
	v_sub_nc_u32_e32 v7, v5, v7
	s_delay_alu instid0(VALU_DEP_1) | instskip(SKIP_1) | instid1(VALU_DEP_2)
	v_subrev_nc_u32_e32 v9, s20, v7
	v_cmp_le_u32_e32 vcc_lo, s20, v7
	v_dual_cndmask_b32 v7, v7, v9 :: v_dual_cndmask_b32 v2, v2, v8
	s_delay_alu instid0(VALU_DEP_1) | instskip(NEXT) | instid1(VALU_DEP_2)
	v_cmp_le_u32_e32 vcc_lo, s20, v7
	v_add_nc_u32_e32 v8, 1, v2
	s_delay_alu instid0(VALU_DEP_1)
	v_dual_cndmask_b32 v7, v2, v8 :: v_dual_mov_b32 v8, v1
.LBB0_6:                                ;   in Loop: Header=BB0_2 Depth=1
	s_or_b32 exec_lo, exec_lo, s2
	s_load_b64 s[2:3], s[14:15], 0x0
	s_delay_alu instid0(VALU_DEP_1) | instskip(NEXT) | instid1(VALU_DEP_2)
	v_mul_lo_u32 v2, v8, s20
	v_mul_lo_u32 v11, v7, s21
	v_mad_u64_u32 v[9:10], null, v7, s20, 0
	s_add_u32 s18, s18, 1
	s_addc_u32 s19, s19, 0
	s_add_u32 s14, s14, 8
	s_addc_u32 s15, s15, 0
	;; [unrolled: 2-line block ×3, first 2 shown]
	s_delay_alu instid0(VALU_DEP_1) | instskip(SKIP_1) | instid1(VALU_DEP_2)
	v_add3_u32 v2, v10, v11, v2
	v_sub_co_u32 v9, vcc_lo, v5, v9
	v_sub_co_ci_u32_e32 v2, vcc_lo, v6, v2, vcc_lo
	s_waitcnt lgkmcnt(0)
	s_delay_alu instid0(VALU_DEP_2) | instskip(NEXT) | instid1(VALU_DEP_2)
	v_mul_lo_u32 v10, s3, v9
	v_mul_lo_u32 v2, s2, v2
	v_mad_u64_u32 v[5:6], null, s2, v9, v[3:4]
	v_cmp_ge_u64_e64 s2, s[18:19], s[6:7]
	s_delay_alu instid0(VALU_DEP_1) | instskip(NEXT) | instid1(VALU_DEP_2)
	s_and_b32 vcc_lo, exec_lo, s2
	v_add3_u32 v4, v10, v6, v2
	s_delay_alu instid0(VALU_DEP_3)
	v_mov_b32_e32 v3, v5
	s_cbranch_vccnz .LBB0_9
; %bb.7:                                ;   in Loop: Header=BB0_2 Depth=1
	v_dual_mov_b32 v5, v7 :: v_dual_mov_b32 v6, v8
	s_branch .LBB0_2
.LBB0_8:
	v_dual_mov_b32 v8, v6 :: v_dual_mov_b32 v7, v5
.LBB0_9:
	s_lshl_b64 s[2:3], s[6:7], 3
	v_mul_hi_u32 v1, 0x20c49bb, v0
	s_add_u32 s2, s12, s2
	s_addc_u32 s3, s13, s3
	s_load_b64 s[0:1], s[0:1], 0x20
	s_load_b64 s[2:3], s[2:3], 0x0
                                        ; implicit-def: $vgpr214
                                        ; implicit-def: $vgpr215
                                        ; implicit-def: $vgpr222
                                        ; implicit-def: $vgpr224
                                        ; implicit-def: $vgpr242
                                        ; implicit-def: $vgpr120
                                        ; implicit-def: $vgpr190
	s_delay_alu instid0(VALU_DEP_1) | instskip(NEXT) | instid1(VALU_DEP_1)
	v_mul_u32_u24_e32 v1, 0x7d, v1
	v_sub_nc_u32_e32 v206, v0, v1
	s_delay_alu instid0(VALU_DEP_1)
	v_add_nc_u32_e32 v213, 0x2ee, v206
	s_waitcnt lgkmcnt(0)
	v_cmp_gt_u64_e32 vcc_lo, s[0:1], v[7:8]
	v_mad_u64_u32 v[0:1], null, s2, v7, v[3:4]
	v_add_nc_u32_e32 v3, 0xfa, v206
	v_mul_lo_u32 v2, s2, v8
	v_mul_lo_u32 v5, s3, v7
	v_cmp_le_u64_e64 s0, s[0:1], v[7:8]
	scratch_store_b32 off, v3, off offset:48 ; 4-byte Folded Spill
	v_add_nc_u32_e32 v3, 0x177, v206
	v_add3_u32 v1, v5, v1, v2
	scratch_store_b32 off, v3, off offset:24 ; 4-byte Folded Spill
	v_add_nc_u32_e32 v3, 0x1f4, v206
	v_add_nc_u32_e32 v2, 0x465, v206
	scratch_store_b32 off, v3, off offset:12 ; 4-byte Folded Spill
	v_add_nc_u32_e32 v3, 0x271, v206
	s_clause 0x1
	scratch_store_b32 off, v2, off offset:28
	scratch_store_b32 off, v3, off offset:8
	s_and_saveexec_b32 s1, s0
	s_delay_alu instid0(SALU_CYCLE_1)
	s_xor_b32 s0, exec_lo, s1
; %bb.10:
	v_add_nc_u32_e32 v214, 0x7d, v206
	v_add_nc_u32_e32 v215, 0xfa, v206
	;; [unrolled: 1-line block ×7, first 2 shown]
; %bb.11:
	s_or_saveexec_b32 s1, s0
	v_lshlrev_b64 v[0:1], 4, v[0:1]
                                        ; implicit-def: $vgpr2_vgpr3
                                        ; implicit-def: $vgpr26_vgpr27
                                        ; implicit-def: $vgpr30_vgpr31
                                        ; implicit-def: $vgpr6_vgpr7
                                        ; implicit-def: $vgpr38_vgpr39
                                        ; implicit-def: $vgpr42_vgpr43
                                        ; implicit-def: $vgpr10_vgpr11
                                        ; implicit-def: $vgpr46_vgpr47
                                        ; implicit-def: $vgpr50_vgpr51
                                        ; implicit-def: $vgpr14_vgpr15
                                        ; implicit-def: $vgpr54_vgpr55
                                        ; implicit-def: $vgpr58_vgpr59
                                        ; implicit-def: $vgpr18_vgpr19
                                        ; implicit-def: $vgpr62_vgpr63
                                        ; implicit-def: $vgpr66_vgpr67
                                        ; implicit-def: $vgpr22_vgpr23
                                        ; implicit-def: $vgpr94_vgpr95
                                        ; implicit-def: $vgpr70_vgpr71
                                        ; implicit-def: $vgpr34_vgpr35
                                        ; implicit-def: $vgpr102_vgpr103
                                        ; implicit-def: $vgpr74_vgpr75
                                        ; implicit-def: $vgpr78_vgpr79
                                        ; implicit-def: $vgpr110_vgpr111
                                        ; implicit-def: $vgpr98_vgpr99
                                        ; implicit-def: $vgpr82_vgpr83
                                        ; implicit-def: $vgpr118_vgpr119
                                        ; implicit-def: $vgpr106_vgpr107
                                        ; implicit-def: $vgpr86_vgpr87
                                        ; implicit-def: $vgpr114_vgpr115
                                        ; implicit-def: $vgpr90_vgpr91
	scratch_store_b64 off, v[0:1], off      ; 8-byte Folded Spill
	v_add_nc_u32_e32 v0, 0x9c4, v206
	scratch_store_b32 off, v0, off offset:36 ; 4-byte Folded Spill
	v_add_nc_u32_e32 v0, 0xa41, v206
	scratch_store_b32 off, v0, off offset:16 ; 4-byte Folded Spill
	;; [unrolled: 2-line block ×8, first 2 shown]
	s_xor_b32 exec_lo, exec_lo, s1
	s_cbranch_execz .LBB0_13
; %bb.12:
	v_add_nc_u32_e32 v12, 0x4e2, v206
	v_mad_u64_u32 v[0:1], null, s8, v206, 0
	v_add_nc_u32_e32 v17, 0x55f, v206
	v_add_nc_u32_e32 v215, 0xfa, v206
	s_delay_alu instid0(VALU_DEP_4)
	v_mad_u64_u32 v[2:3], null, s8, v12, 0
	v_add_nc_u32_e32 v27, 0xabe, v206
	v_add_nc_u32_e32 v29, 0x659, v206
	;; [unrolled: 1-line block ×6, first 2 shown]
	v_mad_u64_u32 v[4:5], null, s9, v206, v[1:2]
	v_dual_mov_b32 v1, v3 :: v_dual_add_nc_u32 v214, 0x7d, v206
	v_mad_u64_u32 v[39:40], null, s8, v44, 0
	s_delay_alu instid0(VALU_DEP_4) | instskip(NEXT) | instid1(VALU_DEP_3)
	v_mad_u64_u32 v[25:26], null, s8, v222, 0
	v_mad_u64_u32 v[10:11], null, s9, v12, v[1:2]
	v_mov_b32_e32 v1, v4
	v_mad_u64_u32 v[8:9], null, s8, v214, 0
	v_add_nc_u32_e32 v13, 0x9c4, v206
	v_add_nc_u32_e32 v224, 0x1f4, v206
	s_delay_alu instid0(VALU_DEP_4)
	v_lshlrev_b64 v[0:1], 4, v[0:1]
	v_add_nc_u32_e32 v36, 0x6d6, v206
	v_add_nc_u32_e32 v43, 0x753, v206
	v_mad_u64_u32 v[6:7], null, s8, v13, 0
	v_add_nc_u32_e32 v49, 0x7d0, v206
	v_add_nc_u32_e32 v53, 0x36b, v206
	;; [unrolled: 1-line block ×3, first 2 shown]
	s_delay_alu instid0(VALU_DEP_4) | instskip(NEXT) | instid1(VALU_DEP_1)
	v_mov_b32_e32 v3, v7
	v_mad_u64_u32 v[11:12], null, s9, v13, v[3:4]
	scratch_load_b64 v[3:4], off, off       ; 8-byte Folded Reload
	v_mov_b32_e32 v7, v11
	v_mad_u64_u32 v[11:12], null, s8, v17, 0
	s_delay_alu instid0(VALU_DEP_2)
	v_lshlrev_b64 v[6:7], 4, v[6:7]
	s_waitcnt vmcnt(0)
	v_add_co_u32 v18, s0, s10, v3
	v_mov_b32_e32 v3, v10
	v_add_co_ci_u32_e64 v19, s0, s11, v4, s0
	v_mov_b32_e32 v4, v9
	s_delay_alu instid0(VALU_DEP_3) | instskip(SKIP_1) | instid1(VALU_DEP_1)
	v_lshlrev_b64 v[9:10], 4, v[2:3]
	v_add_co_u32 v2, s0, v18, v0
	v_add_co_ci_u32_e64 v3, s0, v19, v1, s0
	s_delay_alu instid0(VALU_DEP_4) | instskip(SKIP_2) | instid1(VALU_DEP_1)
	v_mad_u64_u32 v[0:1], null, s9, v214, v[4:5]
	v_dual_mov_b32 v1, v12 :: v_dual_add_nc_u32 v12, 0xa41, v206
	v_add_co_u32 v4, s0, v18, v9
	v_add_co_ci_u32_e64 v5, s0, v19, v10, s0
	s_delay_alu instid0(VALU_DEP_3)
	v_mad_u64_u32 v[13:14], null, s8, v12, 0
	v_mov_b32_e32 v9, v0
	v_add_co_u32 v0, s0, v18, v6
	s_clause 0x1
	global_load_b128 v[88:91], v[2:3], off
	global_load_b128 v[112:115], v[4:5], off
	v_mov_b32_e32 v6, v14
	v_mad_u64_u32 v[15:16], null, s9, v17, v[1:2]
	v_add_co_ci_u32_e64 v1, s0, v19, v7, s0
	v_lshlrev_b64 v[7:8], 4, v[8:9]
	v_mad_u64_u32 v[16:17], null, s8, v215, 0
	s_delay_alu instid0(VALU_DEP_2) | instskip(SKIP_2) | instid1(VALU_DEP_1)
	v_mad_u64_u32 v[9:10], null, s9, v12, v[6:7]
	v_dual_mov_b32 v12, v15 :: v_dual_add_nc_u32 v15, 0x5dc, v206
	v_add_co_u32 v6, s0, v18, v7
	v_add_co_ci_u32_e64 v7, s0, v19, v8, s0
	v_mov_b32_e32 v8, v17
	s_delay_alu instid0(VALU_DEP_4) | instskip(SKIP_2) | instid1(VALU_DEP_4)
	v_mad_u64_u32 v[20:21], null, s8, v15, 0
	v_lshlrev_b64 v[10:11], 4, v[11:12]
	v_mov_b32_e32 v14, v9
	v_mad_u64_u32 v[22:23], null, s9, v215, v[8:9]
	v_mad_u64_u32 v[23:24], null, s8, v27, 0
	v_mov_b32_e32 v12, v21
	v_add_co_u32 v8, s0, v18, v10
	s_delay_alu instid0(VALU_DEP_1) | instskip(SKIP_4) | instid1(VALU_DEP_3)
	v_add_co_ci_u32_e64 v9, s0, v19, v11, s0
	v_lshlrev_b64 v[10:11], 4, v[13:14]
	v_mov_b32_e32 v17, v22
	v_mad_u64_u32 v[13:14], null, s9, v15, v[12:13]
	v_mov_b32_e32 v12, v24
	v_lshlrev_b64 v[14:15], 4, v[16:17]
	v_add_co_u32 v10, s0, v18, v10
	s_delay_alu instid0(VALU_DEP_1) | instskip(SKIP_3) | instid1(VALU_DEP_1)
	v_add_co_ci_u32_e64 v11, s0, v19, v11, s0
	v_mov_b32_e32 v21, v13
	v_mad_u64_u32 v[16:17], null, s9, v27, v[12:13]
	v_add_co_u32 v12, s0, v18, v14
	v_add_co_ci_u32_e64 v13, s0, v19, v15, s0
	s_delay_alu instid0(VALU_DEP_4) | instskip(SKIP_2) | instid1(VALU_DEP_3)
	v_lshlrev_b64 v[14:15], 4, v[20:21]
	v_mad_u64_u32 v[20:21], null, s8, v29, 0
	v_dual_mov_b32 v17, v26 :: v_dual_mov_b32 v24, v16
	v_add_co_u32 v14, s0, v18, v14
	s_delay_alu instid0(VALU_DEP_2) | instskip(NEXT) | instid1(VALU_DEP_4)
	v_mad_u64_u32 v[26:27], null, s9, v222, v[17:18]
	v_mov_b32_e32 v16, v21
	s_delay_alu instid0(VALU_DEP_4) | instskip(SKIP_2) | instid1(VALU_DEP_4)
	v_lshlrev_b64 v[21:22], 4, v[23:24]
	v_mad_u64_u32 v[23:24], null, s8, v31, 0
	v_add_co_ci_u32_e64 v15, s0, v19, v15, s0
	v_mad_u64_u32 v[27:28], null, s9, v29, v[16:17]
	s_delay_alu instid0(VALU_DEP_4) | instskip(NEXT) | instid1(VALU_DEP_1)
	v_add_co_u32 v16, s0, v18, v21
	v_add_co_ci_u32_e64 v17, s0, v19, v22, s0
	v_mov_b32_e32 v22, v24
	v_lshlrev_b64 v[25:26], 4, v[25:26]
	v_mov_b32_e32 v21, v27
	v_mad_u64_u32 v[27:28], null, s8, v224, 0
	s_delay_alu instid0(VALU_DEP_4) | instskip(SKIP_1) | instid1(VALU_DEP_4)
	v_mad_u64_u32 v[29:30], null, s9, v31, v[22:23]
	v_mad_u64_u32 v[30:31], null, s8, v36, 0
	v_lshlrev_b64 v[20:21], 4, v[20:21]
	v_add_co_u32 v25, s0, v18, v25
	v_mov_b32_e32 v22, v28
	v_mov_b32_e32 v24, v29
	v_add_co_ci_u32_e64 v26, s0, v19, v26, s0
	v_add_co_u32 v20, s0, v18, v20
	s_delay_alu instid0(VALU_DEP_4) | instskip(SKIP_3) | instid1(VALU_DEP_3)
	v_mad_u64_u32 v[28:29], null, s9, v224, v[22:23]
	v_dual_mov_b32 v22, v31 :: v_dual_add_nc_u32 v29, 0xbb8, v206
	v_lshlrev_b64 v[23:24], 4, v[23:24]
	v_add_co_ci_u32_e64 v21, s0, v19, v21, s0
	v_mad_u64_u32 v[32:33], null, s8, v29, 0
	s_delay_alu instid0(VALU_DEP_3) | instskip(SKIP_1) | instid1(VALU_DEP_1)
	v_mad_u64_u32 v[34:35], null, s9, v36, v[22:23]
	v_add_co_u32 v22, s0, v18, v23
	v_add_co_ci_u32_e64 v23, s0, v19, v24, s0
	s_delay_alu instid0(VALU_DEP_4) | instskip(SKIP_2) | instid1(VALU_DEP_3)
	v_mov_b32_e32 v24, v33
	v_lshlrev_b64 v[27:28], 4, v[27:28]
	v_mov_b32_e32 v31, v34
	v_mad_u64_u32 v[36:37], null, s9, v29, v[24:25]
	v_add_nc_u32_e32 v242, 0x271, v206
	v_mad_u64_u32 v[37:38], null, s8, v43, 0
	s_delay_alu instid0(VALU_DEP_4) | instskip(SKIP_4) | instid1(VALU_DEP_3)
	v_lshlrev_b64 v[29:30], 4, v[30:31]
	v_add_co_u32 v27, s0, v18, v27
	v_mov_b32_e32 v33, v36
	v_mad_u64_u32 v[34:35], null, s8, v242, 0
	v_add_co_ci_u32_e64 v28, s0, v19, v28, s0
	v_lshlrev_b64 v[31:32], 4, v[32:33]
	v_add_co_u32 v29, s0, v18, v29
	s_delay_alu instid0(VALU_DEP_1) | instskip(SKIP_1) | instid1(VALU_DEP_1)
	v_add_co_ci_u32_e64 v30, s0, v19, v30, s0
	v_mov_b32_e32 v24, v35
	v_mad_u64_u32 v[35:36], null, s9, v242, v[24:25]
	v_mov_b32_e32 v24, v38
	s_delay_alu instid0(VALU_DEP_1)
	v_mad_u64_u32 v[41:42], null, s9, v43, v[24:25]
	v_add_co_u32 v42, s0, v18, v31
	v_mov_b32_e32 v24, v40
	v_add_co_ci_u32_e64 v43, s0, v19, v32, s0
	v_lshlrev_b64 v[31:32], 4, v[34:35]
	v_mad_u64_u32 v[33:34], null, s8, v213, 0
	v_mov_b32_e32 v38, v41
	v_mad_u64_u32 v[35:36], null, s9, v44, v[24:25]
	s_delay_alu instid0(VALU_DEP_4) | instskip(NEXT) | instid1(VALU_DEP_1)
	v_add_co_u32 v44, s0, v18, v31
	v_add_co_ci_u32_e64 v45, s0, v19, v32, s0
	v_mov_b32_e32 v24, v34
	v_lshlrev_b64 v[31:32], 4, v[37:38]
	v_mad_u64_u32 v[36:37], null, s8, v49, 0
	v_dual_mov_b32 v40, v35 :: v_dual_add_nc_u32 v35, 0xcb2, v206
	s_delay_alu instid0(VALU_DEP_4) | instskip(NEXT) | instid1(VALU_DEP_4)
	v_mad_u64_u32 v[46:47], null, s9, v213, v[24:25]
	v_add_co_u32 v47, s0, v18, v31
	s_delay_alu instid0(VALU_DEP_1) | instskip(NEXT) | instid1(VALU_DEP_4)
	v_add_co_ci_u32_e64 v48, s0, v19, v32, s0
	v_lshlrev_b64 v[31:32], 4, v[39:40]
	v_mad_u64_u32 v[38:39], null, s8, v35, 0
	v_mov_b32_e32 v24, v37
	v_mov_b32_e32 v34, v46
	v_add_nc_u32_e32 v46, 0x84d, v206
	v_add_co_u32 v51, s0, v18, v31
	s_delay_alu instid0(VALU_DEP_4) | instskip(SKIP_4) | instid1(VALU_DEP_4)
	v_mad_u64_u32 v[40:41], null, s9, v49, v[24:25]
	v_mov_b32_e32 v24, v39
	v_mad_u64_u32 v[49:50], null, s8, v53, 0
	v_add_co_ci_u32_e64 v52, s0, v19, v32, s0
	v_lshlrev_b64 v[31:32], 4, v[33:34]
	v_mad_u64_u32 v[33:34], null, s9, v35, v[24:25]
	v_mov_b32_e32 v37, v40
	v_mad_u64_u32 v[34:35], null, s8, v46, 0
	v_mov_b32_e32 v24, v50
	v_add_co_u32 v40, s0, v18, v31
	s_delay_alu instid0(VALU_DEP_1) | instskip(SKIP_4) | instid1(VALU_DEP_4)
	v_add_co_ci_u32_e64 v41, s0, v19, v32, s0
	v_lshlrev_b64 v[31:32], 4, v[36:37]
	v_mov_b32_e32 v39, v33
	v_mad_u64_u32 v[36:37], null, s9, v53, v[24:25]
	v_dual_mov_b32 v24, v35 :: v_dual_add_nc_u32 v33, 0xd2f, v206
	v_add_co_u32 v53, s0, v18, v31
	s_delay_alu instid0(VALU_DEP_1) | instskip(SKIP_1) | instid1(VALU_DEP_4)
	v_add_co_ci_u32_e64 v54, s0, v19, v32, s0
	v_lshlrev_b64 v[31:32], 4, v[38:39]
	v_mad_u64_u32 v[37:38], null, s9, v46, v[24:25]
	v_mad_u64_u32 v[38:39], null, s8, v33, 0
	v_mov_b32_e32 v50, v36
	s_delay_alu instid0(VALU_DEP_4) | instskip(NEXT) | instid1(VALU_DEP_1)
	v_add_co_u32 v120, s0, v18, v31
	v_add_co_ci_u32_e64 v121, s0, v19, v32, s0
	s_delay_alu instid0(VALU_DEP_4) | instskip(SKIP_3) | instid1(VALU_DEP_4)
	v_dual_mov_b32 v35, v37 :: v_dual_mov_b32 v24, v39
	v_mad_u64_u32 v[36:37], null, s8, v57, 0
	v_lshlrev_b64 v[31:32], 4, v[49:50]
	v_add_nc_u32_e32 v46, 0x8ca, v206
	v_mad_u64_u32 v[49:50], null, s9, v33, v[24:25]
	s_delay_alu instid0(VALU_DEP_3) | instskip(SKIP_1) | instid1(VALU_DEP_4)
	v_add_co_u32 v122, s0, v18, v31
	v_mov_b32_e32 v24, v37
	v_mad_u64_u32 v[55:56], null, s8, v46, 0
	v_add_co_ci_u32_e64 v123, s0, v19, v32, s0
	v_lshlrev_b64 v[31:32], 4, v[34:35]
	v_mov_b32_e32 v39, v49
	v_add_nc_u32_e32 v49, 0xdac, v206
	v_mad_u64_u32 v[33:34], null, s9, v57, v[24:25]
	v_mov_b32_e32 v24, v56
	v_add_co_u32 v124, s0, v18, v31
	s_delay_alu instid0(VALU_DEP_4)
	v_mad_u64_u32 v[34:35], null, s8, v49, 0
	v_add_co_ci_u32_e64 v125, s0, v19, v32, s0
	v_lshlrev_b64 v[31:32], 4, v[38:39]
	v_mov_b32_e32 v37, v33
	v_mad_u64_u32 v[38:39], null, s9, v46, v[24:25]
	v_dual_mov_b32 v24, v35 :: v_dual_add_nc_u32 v33, 0x947, v206
	s_delay_alu instid0(VALU_DEP_4) | instskip(NEXT) | instid1(VALU_DEP_1)
	v_add_co_u32 v126, s0, v18, v31
	v_add_co_ci_u32_e64 v127, s0, v19, v32, s0
	v_lshlrev_b64 v[31:32], 4, v[36:37]
	s_delay_alu instid0(VALU_DEP_4) | instskip(SKIP_2) | instid1(VALU_DEP_4)
	v_mad_u64_u32 v[35:36], null, s9, v49, v[24:25]
	v_mad_u64_u32 v[36:37], null, s8, v190, 0
	v_mov_b32_e32 v56, v38
	v_add_co_u32 v38, s0, v18, v31
	s_delay_alu instid0(VALU_DEP_1) | instskip(SKIP_4) | instid1(VALU_DEP_3)
	v_add_co_ci_u32_e64 v39, s0, v19, v32, s0
	v_mad_u64_u32 v[31:32], null, s8, v33, 0
	v_add_nc_u32_e32 v46, 0xe29, v206
	v_mov_b32_e32 v24, v37
	v_lshlrev_b64 v[49:50], 4, v[55:56]
	v_mad_u64_u32 v[55:56], null, s8, v46, 0
	s_delay_alu instid0(VALU_DEP_3) | instskip(SKIP_1) | instid1(VALU_DEP_4)
	v_mad_u64_u32 v[57:58], null, s9, v190, v[24:25]
	v_mov_b32_e32 v24, v32
	v_add_co_u32 v128, s0, v18, v49
	s_delay_alu instid0(VALU_DEP_1) | instskip(NEXT) | instid1(VALU_DEP_3)
	v_add_co_ci_u32_e64 v129, s0, v19, v50, s0
	v_mad_u64_u32 v[49:50], null, s9, v33, v[24:25]
	v_mov_b32_e32 v37, v57
	v_lshlrev_b64 v[33:34], 4, v[34:35]
	v_mov_b32_e32 v32, v56
	s_delay_alu instid0(VALU_DEP_3) | instskip(NEXT) | instid1(VALU_DEP_2)
	v_lshlrev_b64 v[2:3], 4, v[36:37]
	v_mad_u64_u32 v[56:57], null, s9, v46, v[32:33]
	v_mov_b32_e32 v32, v49
	v_add_co_u32 v4, s0, v18, v33
	s_delay_alu instid0(VALU_DEP_1) | instskip(NEXT) | instid1(VALU_DEP_3)
	v_add_co_ci_u32_e64 v5, s0, v19, v34, s0
	v_lshlrev_b64 v[31:32], 4, v[31:32]
	v_add_co_u32 v2, s0, v18, v2
	v_lshlrev_b64 v[33:34], 4, v[55:56]
	v_add_co_ci_u32_e64 v3, s0, v19, v3, s0
	s_delay_alu instid0(VALU_DEP_4) | instskip(NEXT) | instid1(VALU_DEP_1)
	v_add_co_u32 v130, s0, v18, v31
	v_add_co_ci_u32_e64 v131, s0, v19, v32, s0
	s_delay_alu instid0(VALU_DEP_4) | instskip(NEXT) | instid1(VALU_DEP_1)
	v_add_co_u32 v132, s0, v18, v33
	v_add_co_ci_u32_e64 v133, s0, v19, v34, s0
	s_clause 0x1b
	global_load_b128 v[84:87], v[0:1], off
	global_load_b128 v[104:107], v[6:7], off
	;; [unrolled: 1-line block ×28, first 2 shown]
	v_mov_b32_e32 v120, v213
.LBB0_13:
	s_or_b32 exec_lo, exec_lo, s1
	s_waitcnt vmcnt(27)
	v_add_f64 v[121:122], v[84:85], v[112:113]
	v_add_f64 v[123:124], v[86:87], v[114:115]
	s_waitcnt vmcnt(24)
	v_add_f64 v[125:126], v[80:81], v[116:117]
	v_add_f64 v[127:128], v[82:83], v[118:119]
	;; [unrolled: 3-line block ×3, first 2 shown]
	s_waitcnt vmcnt(18)
	v_add_f64 v[133:134], v[32:33], v[100:101]
	s_waitcnt vmcnt(15)
	v_add_f64 v[149:150], v[20:21], v[92:93]
	s_waitcnt vmcnt(12)
	v_add_f64 v[153:154], v[16:17], v[60:61]
	v_add_f64 v[135:136], v[112:113], v[88:89]
	v_add_f64 v[137:138], v[114:115], v[90:91]
	v_add_f64 v[114:115], v[114:115], -v[86:87]
	v_add_f64 v[139:140], v[116:117], v[104:105]
	v_add_f64 v[141:142], v[118:119], v[106:107]
	;; [unrolled: 1-line block ×4, first 2 shown]
	v_add_f64 v[112:113], v[112:113], -v[84:85]
	v_add_f64 v[118:119], v[118:119], -v[82:83]
	;; [unrolled: 1-line block ×5, first 2 shown]
	s_waitcnt vmcnt(6)
	v_add_f64 v[157:158], v[8:9], v[44:45]
	s_waitcnt vmcnt(3)
	v_add_f64 v[163:164], v[4:5], v[36:37]
	v_add_f64 v[147:148], v[34:35], v[102:103]
	s_waitcnt vmcnt(0)
	v_add_f64 v[167:168], v[0:1], v[24:25]
	v_add_f64 v[151:152], v[22:23], v[94:95]
	;; [unrolled: 1-line block ×6, first 2 shown]
	v_add_f64 v[159:160], v[62:63], -v[18:19]
	s_mov_b32 s0, 0xe8584caa
	s_mov_b32 s1, 0x3febb67a
	;; [unrolled: 1-line block ×4, first 2 shown]
	v_mad_i32_i24 v226, v222, 24, 0
	v_mad_i32_i24 v220, v242, 24, 0
	;; [unrolled: 1-line block ×3, first 2 shown]
	v_fma_f64 v[88:89], v[121:122], -0.5, v[88:89]
	v_fma_f64 v[90:91], v[123:124], -0.5, v[90:91]
	v_add_f64 v[121:122], v[100:101], v[72:73]
	v_fma_f64 v[104:105], v[125:126], -0.5, v[104:105]
	v_add_f64 v[123:124], v[102:103], -v[34:35]
	v_fma_f64 v[106:107], v[127:128], -0.5, v[106:107]
	v_fma_f64 v[96:97], v[129:130], -0.5, v[96:97]
	;; [unrolled: 1-line block ×4, first 2 shown]
	v_add_f64 v[129:130], v[18:19], v[62:63]
	v_add_f64 v[133:134], v[12:13], v[52:53]
	v_add_f64 v[102:103], v[102:103], v[74:75]
	v_add_f64 v[125:126], v[92:93], v[68:69]
	v_add_f64 v[127:128], v[94:95], -v[22:23]
	v_add_f64 v[94:95], v[94:95], v[70:71]
	v_add_f64 v[131:132], v[60:61], v[64:65]
	v_fma_f64 v[68:69], v[149:150], -0.5, v[68:69]
	v_fma_f64 v[64:65], v[153:154], -0.5, v[64:65]
	v_add_f64 v[84:85], v[84:85], v[135:136]
	v_add_f64 v[86:87], v[86:87], v[137:138]
	;; [unrolled: 1-line block ×3, first 2 shown]
	v_add_f64 v[137:138], v[46:47], -v[10:11]
	v_add_f64 v[80:81], v[80:81], v[139:140]
	v_add_f64 v[82:83], v[82:83], v[141:142]
	;; [unrolled: 1-line block ×4, first 2 shown]
	v_fma_f64 v[40:41], v[163:164], -0.5, v[40:41]
	v_add_f64 v[141:142], v[38:39], -v[6:7]
	v_add_f64 v[100:101], v[100:101], -v[32:33]
	v_add_f64 v[76:77], v[76:77], v[143:144]
	v_add_f64 v[78:79], v[78:79], v[145:146]
	v_fma_f64 v[74:75], v[147:148], -0.5, v[74:75]
	v_add_f64 v[143:144], v[24:25], v[28:29]
	v_fma_f64 v[28:29], v[167:168], -0.5, v[28:29]
	v_add_f64 v[145:146], v[26:27], -v[2:3]
	v_add_f64 v[92:93], v[92:93], -v[20:21]
	v_fma_f64 v[70:71], v[151:152], -0.5, v[70:71]
	v_add_f64 v[60:61], v[60:61], -v[16:17]
	v_fma_f64 v[135:136], v[114:115], s[0:1], v[88:89]
	v_fma_f64 v[88:89], v[114:115], s[2:3], v[88:89]
	;; [unrolled: 1-line block ×14, first 2 shown]
	v_fma_f64 v[66:67], v[129:130], -0.5, v[66:67]
	v_add_f64 v[123:124], v[52:53], v[56:57]
	v_fma_f64 v[56:57], v[133:134], -0.5, v[56:57]
	v_add_f64 v[129:130], v[54:55], -v[14:15]
	v_add_f64 v[54:55], v[54:55], v[58:59]
	v_add_f64 v[133:134], v[44:45], v[48:49]
	v_fma_f64 v[48:49], v[157:158], -0.5, v[48:49]
	v_fma_f64 v[58:59], v[155:156], -0.5, v[58:59]
	v_add_f64 v[52:53], v[52:53], -v[12:13]
	v_fma_f64 v[50:51], v[161:162], -0.5, v[50:51]
	v_add_f64 v[44:45], v[44:45], -v[8:9]
	v_add_f64 v[32:33], v[32:33], v[121:122]
	v_fma_f64 v[121:122], v[165:166], -0.5, v[42:43]
	v_add_f64 v[38:39], v[38:39], v[42:43]
	v_add_f64 v[36:37], v[36:37], -v[4:5]
	v_add_f64 v[26:27], v[26:27], v[30:31]
	v_fma_f64 v[30:31], v[169:170], -0.5, v[30:31]
	v_add_f64 v[24:25], v[24:25], -v[0:1]
	v_add_f64 v[102:103], v[34:35], v[102:103]
	v_fma_f64 v[34:35], v[127:128], s[0:1], v[68:69]
	v_fma_f64 v[42:43], v[127:128], s[2:3], v[68:69]
	v_add_f64 v[68:69], v[22:23], v[94:95]
	v_add_f64 v[16:17], v[16:17], v[131:132]
	v_fma_f64 v[22:23], v[159:160], s[0:1], v[64:65]
	v_fma_f64 v[64:65], v[159:160], s[2:3], v[64:65]
	v_add_f64 v[20:21], v[20:21], v[125:126]
	v_add_f64 v[62:63], v[18:19], v[62:63]
	;; [unrolled: 1-line block ×4, first 2 shown]
	v_fma_f64 v[10:11], v[141:142], s[0:1], v[40:41]
	v_fma_f64 v[40:41], v[141:142], s[2:3], v[40:41]
	;; [unrolled: 1-line block ×4, first 2 shown]
	v_add_f64 v[0:1], v[0:1], v[143:144]
	v_fma_f64 v[100:101], v[145:146], s[0:1], v[28:29]
	v_fma_f64 v[28:29], v[145:146], s[2:3], v[28:29]
	;; [unrolled: 1-line block ×5, first 2 shown]
	v_add_f64 v[12:13], v[12:13], v[123:124]
	v_fma_f64 v[60:61], v[60:61], s[0:1], v[66:67]
	v_fma_f64 v[18:19], v[129:130], s[0:1], v[56:57]
	v_add_f64 v[54:55], v[14:15], v[54:55]
	v_add_f64 v[8:9], v[8:9], v[133:134]
	v_fma_f64 v[14:15], v[137:138], s[0:1], v[48:49]
	v_fma_f64 v[56:57], v[129:130], s[2:3], v[56:57]
	;; [unrolled: 1-line block ×7, first 2 shown]
	v_add_f64 v[50:51], v[6:7], v[38:39]
	v_fma_f64 v[123:124], v[36:37], s[2:3], v[121:122]
	v_mad_u32_u24 v131, v206, 24, 0
	v_mad_i32_i24 v156, v214, 24, 0
	v_mad_i32_i24 v157, v215, 24, 0
	v_fma_f64 v[121:122], v[36:37], s[0:1], v[121:122]
	v_add_f64 v[125:126], v[2:3], v[26:27]
	v_fma_f64 v[127:128], v[24:25], s[2:3], v[30:31]
	v_fma_f64 v[129:130], v[24:25], s[0:1], v[30:31]
	ds_store_2addr_b64 v131, v[84:85], v[135:136] offset1:1
	ds_store_b64 v131, v[88:89] offset:16
	ds_store_2addr_b64 v156, v[80:81], v[112:113] offset1:1
	ds_store_b64 v156, v[104:105] offset:16
	ds_store_2addr_b64 v157, v[76:77], v[116:117] offset1:1
	ds_store_b64 v157, v[96:97] offset:16
	ds_store_2addr_b64 v226, v[32:33], v[108:109] offset1:1
	ds_store_b64 v226, v[72:73] offset:16
	ds_store_2addr_b64 v234, v[20:21], v[34:35] offset1:1
	ds_store_b64 v234, v[42:43] offset:16
	v_mad_i32_i24 v221, v120, 24, 0
	ds_store_2addr_b64 v220, v[16:17], v[22:23] offset1:1
	ds_store_b64 v220, v[64:65] offset:16
	v_add_nc_u32_e32 v64, 0x5208, v131
	v_and_b32_e32 v192, 0xff, v214
	v_add_nc_u32_e32 v65, 0x5dc0, v131
	ds_store_2addr_b64 v221, v[12:13], v[18:19] offset1:1
	ds_store_b64 v221, v[56:57] offset:16
	ds_store_2addr_b64 v64, v[8:9], v[14:15] offset1:1
	ds_store_2addr_b64 v65, v[4:5], v[10:11] offset1:1
	ds_store_b64 v131, v[48:49] offset:21016
	ds_store_b64 v131, v[40:41] offset:24016
	v_mul_lo_u16 v48, 0xab, v192
	v_and_b32_e32 v191, 0xffff, v215
	v_mad_i32_i24 v56, v190, 24, 0
	v_lshl_add_u32 v223, v206, 3, 0
	v_lshlrev_b32_e32 v4, 4, v214
	v_lshrrev_b16 v254, 9, v48
	v_mul_u32_u24_e32 v48, 0xaaab, v191
	ds_store_2addr_b64 v56, v[0:1], v[100:101] offset1:1
	ds_store_b64 v56, v[28:29] offset:16
	v_lshlrev_b32_e32 v0, 4, v120
	v_lshlrev_b32_e32 v12, 4, v215
	v_mul_lo_u16 v49, v254, 3
	v_lshrrev_b32_e32 v253, 17, v48
	v_lshlrev_b32_e32 v13, 4, v222
	v_add_nc_u32_e32 v225, 0x2800, v223
	v_add_nc_u32_e32 v240, 0x4000, v223
	v_add_nc_u32_e32 v232, 0x4800, v223
	v_lshlrev_b32_e32 v16, 4, v224
	v_add_nc_u32_e32 v235, 0x5800, v223
	v_add_nc_u32_e32 v233, 0x6000, v223
	;; [unrolled: 1-line block ×4, first 2 shown]
	v_lshlrev_b32_e32 v17, 4, v242
	v_add_nc_u32_e32 v227, 0x1800, v223
	v_sub_nc_u32_e32 v244, v156, v4
	v_add_nc_u32_e32 v237, 0x5000, v223
	v_add_nc_u32_e32 v241, 0x6800, v223
	v_sub_nc_u16 v48, v214, v49
	v_mul_lo_u16 v49, v253, 3
	v_sub_nc_u32_e32 v243, v221, v0
	v_add_nc_u32_e32 v239, 0x3000, v223
	v_sub_nc_u32_e32 v245, v157, v12
	s_waitcnt lgkmcnt(0)
	s_waitcnt_vscnt null, 0x0
	s_barrier
	buffer_gl0_inv
	s_clause 0x1
	scratch_store_b32 off, v0, off offset:60
	scratch_store_b32 off, v4, off offset:64
	v_sub_nc_u32_e32 v246, v226, v13
	ds_load_b64 v[158:159], v223
	ds_load_2addr_b64 v[0:3], v225 offset0:95 offset1:220
	ds_load_2addr_b64 v[8:11], v240 offset0:77 offset1:202
	ds_load_2addr_b64 v[4:7], v235 offset0:59 offset1:184
	ds_load_2addr_b64 v[40:43], v227 offset0:107 offset1:232
	ds_load_2addr_b64 v[32:35], v239 offset0:89 offset1:214
	ds_load_2addr_b64 v[36:39], v232 offset0:71 offset1:196
	ds_load_2addr_b64 v[28:31], v233 offset0:53 offset1:178
	s_clause 0x1
	scratch_store_b32 off, v12, off offset:68
	scratch_store_b32 off, v13, off offset:72
	v_sub_nc_u32_e32 v247, v234, v16
	ds_load_2addr_b64 v[20:23], v238 offset0:101 offset1:226
	ds_load_2addr_b64 v[24:27], v236 offset0:83 offset1:208
	;; [unrolled: 1-line block ×3, first 2 shown]
	s_clause 0x1
	scratch_store_b32 off, v16, off offset:76
	scratch_store_b32 off, v17, off offset:80
	v_sub_nc_u32_e32 v248, v220, v17
	ds_load_2addr_b64 v[16:19], v241 offset0:47 offset1:172
	ds_load_b64 v[166:167], v245
	ds_load_b64 v[164:165], v246
	;; [unrolled: 1-line block ×6, first 2 shown]
	ds_load_b64 v[170:171], v223 offset:29000
	s_waitcnt lgkmcnt(0)
	s_waitcnt_vscnt null, 0x0
	s_barrier
	buffer_gl0_inv
	ds_store_2addr_b64 v131, v[86:87], v[114:115] offset1:1
	ds_store_b64 v131, v[90:91] offset:16
	ds_store_2addr_b64 v156, v[82:83], v[118:119] offset1:1
	ds_store_b64 v156, v[106:107] offset:16
	;; [unrolled: 2-line block ×7, first 2 shown]
	ds_store_2addr_b64 v64, v[46:47], v[58:59] offset1:1
	ds_store_2addr_b64 v65, v[50:51], v[123:124] offset1:1
	v_sub_nc_u16 v46, v215, v49
	v_and_b32_e32 v200, 0xff, v48
	ds_store_b64 v131, v[44:45] offset:21016
	ds_store_b64 v131, v[121:122] offset:24016
	ds_store_2addr_b64 v56, v[125:126], v[127:128] offset1:1
	ds_store_b64 v56, v[129:130] offset:16
	s_waitcnt lgkmcnt(0)
	s_barrier
	v_and_b32_e32 v252, 0xffff, v46
	v_lshlrev_b32_e32 v44, 6, v200
	buffer_gl0_inv
	v_and_b32_e32 v249, 0xffff, v222
	v_and_b32_e32 v250, 0xffff, v224
	v_lshlrev_b32_e32 v45, 6, v252
	s_clause 0x3
	global_load_b128 v[132:135], v44, s[4:5]
	global_load_b128 v[128:131], v45, s[4:5]
	global_load_b128 v[116:119], v44, s[4:5] offset:16
	global_load_b128 v[112:115], v45, s[4:5] offset:16
	v_mul_u32_u24_e32 v46, 0xaaab, v249
	s_clause 0x2
	global_load_b128 v[120:123], v44, s[4:5] offset:32
	global_load_b128 v[136:139], v44, s[4:5] offset:48
	;; [unrolled: 1-line block ×3, first 2 shown]
	v_and_b32_e32 v251, 0xff, v206
	v_lshrrev_b32_e32 v202, 17, v46
	v_mul_u32_u24_e32 v46, 0xaaab, v250
	v_and_b32_e32 v193, 0xffff, v242
	v_mul_u32_u24_e32 v194, 0x78, v253
	v_lshlrev_b32_e32 v199, 3, v200
	v_mul_lo_u16 v47, v202, 3
	v_lshrrev_b32_e32 v201, 17, v46
	v_mul_u32_u24_e32 v69, 0xaaab, v193
	v_mul_u32_u24_e32 v195, 0x78, v202
	v_lshlrev_b32_e32 v200, 3, v252
	v_sub_nc_u16 v48, v222, v47
	v_mul_lo_u16 v49, v201, 3
	v_lshrrev_b32_e32 v196, 17, v69
	v_mul_u32_u24_e32 v198, 0x78, v201
	s_mov_b32 s14, 0x134454ff
	v_and_b32_e32 v255, 0xffff, v48
	v_sub_nc_u16 v48, v224, v49
	v_mul_lo_u16 v82, v196, 3
	s_mov_b32 s15, 0x3fee6f0e
	s_mov_b32 s17, 0xbfee6f0e
	v_lshlrev_b32_e32 v80, 6, v255
	v_and_b32_e32 v203, 0xffff, v48
	v_mul_lo_u16 v48, 0xab, v251
	v_sub_nc_u16 v82, v242, v82
	s_mov_b32 s16, s14
	s_clause 0x2
	global_load_b128 v[60:63], v80, s[4:5]
	global_load_b128 v[44:47], v45, s[4:5] offset:48
	global_load_b128 v[52:55], v80, s[4:5] offset:16
	v_lshrrev_b16 v207, 9, v48
	v_lshlrev_b32_e32 v81, 6, v203
	v_and_b32_e32 v197, 0xffff, v82
	v_lshlrev_b32_e32 v212, 3, v203
	s_mov_b32 s6, 0x4755a5e
	v_mul_lo_u16 v48, v207, 3
	global_load_b128 v[56:59], v81, s[4:5]
	v_lshlrev_b32_e32 v108, 6, v197
	s_mov_b32 s7, 0x3fe2cf23
	s_mov_b32 s13, 0xbfe2cf23
	v_sub_nc_u16 v64, v206, v48
	global_load_b128 v[48:51], v81, s[4:5] offset:16
	s_mov_b32 s12, s6
	s_mov_b32 s2, 0x372fe950
	;; [unrolled: 1-line block ×3, first 2 shown]
	v_and_b32_e32 v205, 0xff, v64
	v_lshlrev_b32_e32 v211, 3, v255
	v_cmp_gt_u32_e64 s0, 0x4b, v206
	s_delay_alu instid0(VALU_DEP_3)
	v_lshlrev_b32_e32 v68, 6, v205
	s_clause 0xb
	global_load_b128 v[100:103], v80, s[4:5] offset:32
	global_load_b128 v[64:67], v68, s[4:5]
	global_load_b128 v[76:79], v68, s[4:5] offset:16
	global_load_b128 v[72:75], v68, s[4:5] offset:32
	global_load_b128 v[68:71], v68, s[4:5] offset:48
	global_load_b128 v[84:87], v81, s[4:5] offset:32
	global_load_b128 v[96:99], v80, s[4:5] offset:48
	global_load_b128 v[104:107], v81, s[4:5] offset:48
	global_load_b128 v[92:95], v108, s[4:5]
	global_load_b128 v[80:83], v108, s[4:5] offset:16
	global_load_b128 v[88:91], v108, s[4:5] offset:32
	;; [unrolled: 1-line block ×3, first 2 shown]
	ds_load_2addr_b64 v[152:155], v227 offset0:107 offset1:232
	ds_load_2addr_b64 v[144:147], v239 offset0:89 offset1:214
	;; [unrolled: 1-line block ×4, first 2 shown]
	s_waitcnt vmcnt(23) lgkmcnt(3)
	v_mul_f64 v[186:187], v[152:153], v[134:135]
	v_mul_f64 v[188:189], v[40:41], v[134:135]
	s_waitcnt vmcnt(22)
	v_mul_f64 v[184:185], v[154:155], v[130:131]
	v_mul_f64 v[182:183], v[42:43], v[130:131]
	s_waitcnt vmcnt(21) lgkmcnt(2)
	v_mul_f64 v[130:131], v[144:145], v[118:119]
	v_mul_f64 v[134:135], v[32:33], v[118:119]
	s_waitcnt vmcnt(20)
	v_mul_f64 v[180:181], v[146:147], v[114:115]
	v_mul_f64 v[178:179], v[34:35], v[114:115]
	s_waitcnt vmcnt(19) lgkmcnt(1)
	v_mul_f64 v[174:175], v[148:149], v[122:123]
	v_mul_f64 v[176:177], v[36:37], v[122:123]
	v_and_b32_e32 v115, 0xffff, v254
	v_and_b32_e32 v114, 0xffff, v207
	s_waitcnt vmcnt(17)
	v_mul_f64 v[207:208], v[150:151], v[142:143]
	v_mul_f64 v[209:210], v[38:39], v[142:143]
	s_waitcnt lgkmcnt(0)
	v_mul_f64 v[201:202], v[124:125], v[138:139]
	v_mul_f64 v[138:139], v[28:29], v[138:139]
	v_mul_u32_u24_e32 v114, 0x78, v114
	s_waitcnt vmcnt(16)
	v_mul_f64 v[218:219], v[20:21], v[62:63]
	s_waitcnt vmcnt(15)
	v_mul_f64 v[216:217], v[126:127], v[46:47]
	v_fma_f64 v[118:119], v[40:41], v[132:133], -v[186:187]
	v_fma_f64 v[40:41], v[152:153], v[132:133], v[188:189]
	ds_load_2addr_b64 v[186:189], v238 offset0:101 offset1:226
	v_mul_u32_u24_e32 v133, 0x78, v115
	v_lshlrev_b32_e32 v115, 3, v205
	v_mul_f64 v[204:205], v[30:31], v[46:47]
	v_fma_f64 v[122:123], v[42:43], v[128:129], -v[184:185]
	v_fma_f64 v[42:43], v[154:155], v[128:129], v[182:183]
	ds_load_2addr_b64 v[152:155], v236 offset0:83 offset1:208
	v_add3_u32 v132, 0, v114, v115
	v_fma_f64 v[128:129], v[32:33], v[116:117], -v[130:131]
	v_fma_f64 v[114:115], v[144:145], v[116:117], v[134:135]
	ds_load_2addr_b64 v[142:145], v237 offset0:65 offset1:190
	v_fma_f64 v[116:117], v[34:35], v[112:113], -v[180:181]
	v_fma_f64 v[46:47], v[146:147], v[112:113], v[178:179]
	ds_load_2addr_b64 v[178:181], v225 offset0:95 offset1:220
	ds_load_2addr_b64 v[182:185], v240 offset0:77 offset1:202
	v_fma_f64 v[34:35], v[148:149], v[120:121], v[176:177]
	ds_load_2addr_b64 v[146:149], v235 offset0:59 offset1:184
	v_fma_f64 v[32:33], v[150:151], v[140:141], v[209:210]
	s_waitcnt vmcnt(14)
	v_mul_f64 v[150:151], v[24:25], v[54:55]
	s_waitcnt lgkmcnt(5)
	v_mul_f64 v[130:131], v[186:187], v[62:63]
	v_fma_f64 v[62:63], v[36:37], v[120:121], -v[174:175]
	ds_load_b64 v[120:121], v243
	s_waitcnt vmcnt(13)
	v_mul_f64 v[112:113], v[188:189], v[58:59]
	v_mul_f64 v[58:59], v[22:23], v[58:59]
	v_fma_f64 v[174:175], v[38:39], v[140:141], -v[207:208]
	s_waitcnt lgkmcnt(5)
	v_mul_f64 v[140:141], v[152:153], v[54:55]
	v_add3_u32 v39, 0, v194, v200
	s_waitcnt vmcnt(12)
	v_mul_f64 v[176:177], v[154:155], v[50:51]
	v_mul_f64 v[50:51], v[26:27], v[50:51]
	v_fma_f64 v[36:37], v[28:29], v[136:137], -v[201:202]
	v_fma_f64 v[28:29], v[124:125], v[136:137], v[138:139]
	s_waitcnt vmcnt(11) lgkmcnt(4)
	v_mul_f64 v[200:201], v[142:143], v[102:103]
	v_fma_f64 v[137:138], v[30:31], v[44:45], -v[216:217]
	v_mul_f64 v[102:103], v[12:13], v[102:103]
	s_waitcnt vmcnt(8) lgkmcnt(2)
	v_mul_f64 v[207:208], v[184:185], v[74:75]
	s_waitcnt vmcnt(7) lgkmcnt(1)
	v_mul_f64 v[209:210], v[148:149], v[70:71]
	v_add3_u32 v54, 0, v133, v199
	ds_load_2addr_b64 v[133:136], v241 offset0:47 offset1:172
	ds_load_b64 v[124:125], v244
	v_mul_f64 v[70:71], v[6:7], v[70:71]
	v_add3_u32 v38, 0, v195, v211
	v_fma_f64 v[30:31], v[126:127], v[44:45], v[204:205]
	s_waitcnt lgkmcnt(2)
	v_mul_f64 v[202:203], v[120:121], v[66:67]
	v_mul_f64 v[204:205], v[180:181], v[78:79]
	ds_load_b64 v[126:127], v223 offset:29000
	v_mul_f64 v[78:79], v[2:3], v[78:79]
	v_mul_f64 v[66:67], v[172:173], v[66:67]
	v_mul_u32_u24_e32 v45, 0x78, v196
	v_add3_u32 v44, 0, v198, v212
	v_add_f64 v[216:217], v[114:115], -v[34:35]
	v_fma_f64 v[20:21], v[20:21], v[60:61], -v[130:131]
	ds_load_b64 v[130:131], v223
	v_fma_f64 v[60:61], v[186:187], v[60:61], v[218:219]
	v_fma_f64 v[22:23], v[22:23], v[56:57], -v[112:113]
	v_fma_f64 v[55:56], v[188:189], v[56:57], v[58:59]
	v_mul_f64 v[57:58], v[10:11], v[74:75]
	s_waitcnt vmcnt(5) lgkmcnt(3)
	v_mul_f64 v[74:75], v[133:134], v[98:99]
	s_waitcnt vmcnt(4)
	v_mul_f64 v[112:113], v[135:136], v[106:107]
	v_mul_f64 v[186:187], v[144:145], v[86:87]
	;; [unrolled: 1-line block ×3, first 2 shown]
	v_fma_f64 v[24:25], v[24:25], v[52:53], -v[140:141]
	v_fma_f64 v[52:53], v[152:153], v[52:53], v[150:151]
	v_fma_f64 v[26:27], v[26:27], v[48:49], -v[176:177]
	s_waitcnt vmcnt(2)
	v_mul_f64 v[150:151], v[182:183], v[82:83]
	v_fma_f64 v[48:49], v[154:155], v[48:49], v[50:51]
	v_mul_f64 v[50:51], v[8:9], v[82:83]
	s_waitcnt vmcnt(1)
	v_mul_f64 v[82:83], v[146:147], v[90:91]
	v_fma_f64 v[12:13], v[12:13], v[100:101], -v[200:201]
	v_fma_f64 v[100:101], v[142:143], v[100:101], v[102:103]
	v_fma_f64 v[10:11], v[10:11], v[72:73], -v[207:208]
	v_fma_f64 v[6:7], v[6:7], v[68:69], -v[209:210]
	v_mul_f64 v[98:99], v[16:17], v[98:99]
	v_fma_f64 v[102:103], v[172:173], v[64:65], -v[202:203]
	v_fma_f64 v[2:3], v[2:3], v[76:77], -v[204:205]
	v_mul_f64 v[106:107], v[18:19], v[106:107]
	v_mul_f64 v[139:140], v[178:179], v[94:95]
	v_mul_f64 v[94:95], v[0:1], v[94:95]
	s_waitcnt vmcnt(0) lgkmcnt(1)
	v_mul_f64 v[152:153], v[126:127], v[110:111]
	v_mul_f64 v[90:91], v[4:5], v[90:91]
	;; [unrolled: 1-line block ×3, first 2 shown]
	v_fma_f64 v[76:77], v[180:181], v[76:77], v[78:79]
	v_fma_f64 v[64:65], v[120:121], v[64:65], v[66:67]
	;; [unrolled: 1-line block ×3, first 2 shown]
	v_add_f64 v[120:121], v[168:169], v[118:119]
	v_add_f64 v[141:142], v[116:117], -v[122:123]
	v_lshlrev_b32_e32 v59, 3, v197
	s_delay_alu instid0(VALU_DEP_1)
	v_add3_u32 v45, 0, v45, v59
	v_fma_f64 v[57:58], v[184:185], v[72:73], v[57:58]
	v_fma_f64 v[16:17], v[16:17], v[96:97], -v[74:75]
	v_fma_f64 v[18:19], v[18:19], v[104:105], -v[112:113]
	;; [unrolled: 1-line block ×3, first 2 shown]
	v_fma_f64 v[72:73], v[144:145], v[84:85], v[86:87]
	v_add_f64 v[143:144], v[174:175], -v[137:138]
	v_add_f64 v[176:177], v[24:25], -v[20:21]
	;; [unrolled: 1-line block ×3, first 2 shown]
	v_fma_f64 v[8:9], v[8:9], v[80:81], -v[150:151]
	v_add_f64 v[184:185], v[26:27], -v[22:23]
	v_fma_f64 v[50:51], v[182:183], v[80:81], v[50:51]
	v_fma_f64 v[4:5], v[4:5], v[88:89], -v[82:83]
	v_add_f64 v[180:181], v[22:23], -v[26:27]
	v_add_f64 v[86:87], v[6:7], -v[10:11]
	v_fma_f64 v[74:75], v[133:134], v[96:97], v[98:99]
	v_add_f64 v[98:99], v[118:119], -v[128:129]
	v_add_f64 v[82:83], v[102:103], -v[2:3]
	v_fma_f64 v[78:79], v[135:136], v[104:105], v[106:107]
	v_fma_f64 v[0:1], v[0:1], v[92:93], -v[139:140]
	v_fma_f64 v[84:85], v[178:179], v[92:93], v[94:95]
	v_fma_f64 v[80:81], v[170:171], v[108:109], -v[152:153]
	v_add_f64 v[92:93], v[102:103], v[6:7]
	v_add_f64 v[104:105], v[36:37], -v[62:63]
	v_fma_f64 v[68:69], v[146:147], v[88:89], v[90:91]
	v_add_f64 v[90:91], v[2:3], v[10:11]
	v_fma_f64 v[70:71], v[126:127], v[108:109], v[110:111]
	v_add_f64 v[106:107], v[128:129], v[62:63]
	v_add_f64 v[108:109], v[118:119], v[36:37]
	;; [unrolled: 1-line block ×3, first 2 shown]
	v_add_f64 v[94:95], v[2:3], -v[102:103]
	v_add_f64 v[96:97], v[10:11], -v[6:7]
	v_add_f64 v[126:127], v[122:123], -v[116:117]
	v_add_f64 v[133:134], v[137:138], -v[174:175]
	v_add_f64 v[135:136], v[116:117], v[174:175]
	v_add_f64 v[139:140], v[122:123], v[137:138]
	v_add_f64 v[145:146], v[20:21], -v[24:25]
	v_add_f64 v[151:152], v[166:167], v[122:123]
	v_add_f64 v[147:148], v[16:17], -v[12:13]
	v_add_f64 v[153:154], v[164:165], v[20:21]
	v_add_f64 v[170:171], v[24:25], v[12:13]
	;; [unrolled: 1-line block ×3, first 2 shown]
	v_add_f64 v[178:179], v[12:13], -v[16:17]
	v_add_f64 v[252:253], v[22:23], v[18:19]
	v_add_f64 v[110:111], v[128:129], -v[118:119]
	v_add_f64 v[149:150], v[76:77], -v[57:58]
	;; [unrolled: 1-line block ×7, first 2 shown]
	s_waitcnt lgkmcnt(0)
	v_add_f64 v[218:219], v[130:131], v[64:65]
	v_add_f64 v[228:229], v[76:77], v[57:58]
	;; [unrolled: 1-line block ×3, first 2 shown]
	v_add_f64 v[143:144], v[52:53], -v[100:101]
	v_add_f64 v[82:83], v[82:83], v[86:87]
	v_add_f64 v[86:87], v[26:27], v[14:15]
	v_add_f64 v[200:201], v[8:9], -v[0:1]
	v_add_f64 v[188:189], v[0:1], -v[8:9]
	;; [unrolled: 1-line block ×3, first 2 shown]
	v_fma_f64 v[92:93], v[92:93], -0.5, v[158:159]
	v_add_f64 v[98:99], v[98:99], v[104:105]
	v_add_f64 v[104:105], v[8:9], v[4:5]
	v_fma_f64 v[90:91], v[90:91], -0.5, v[158:159]
	v_add_f64 v[158:159], v[0:1], v[80:81]
	v_fma_f64 v[106:107], v[106:107], -0.5, v[168:169]
	v_fma_f64 v[108:109], v[108:109], -0.5, v[168:169]
	v_add_f64 v[168:169], v[162:163], v[22:23]
	v_add_f64 v[196:197], v[80:81], -v[4:5]
	v_add_f64 v[94:95], v[94:95], v[96:97]
	v_add_f64 v[96:97], v[40:41], -v[28:29]
	v_add_f64 v[126:127], v[126:127], v[133:134]
	v_add_f64 v[133:134], v[46:47], -v[32:33]
	v_fma_f64 v[135:136], v[135:136], -0.5, v[166:167]
	v_fma_f64 v[139:140], v[139:140], -0.5, v[166:167]
	v_add_f64 v[166:167], v[42:43], -v[30:31]
	v_add_f64 v[145:146], v[145:146], v[147:148]
	v_add_f64 v[147:148], v[60:61], -v[74:75]
	v_fma_f64 v[170:171], v[170:171], -0.5, v[164:165]
	v_fma_f64 v[164:165], v[172:173], -0.5, v[164:165]
	v_add_f64 v[176:177], v[176:177], v[178:179]
	v_add_f64 v[178:179], v[48:49], -v[72:73]
	v_add_f64 v[88:89], v[88:89], v[2:3]
	v_add_f64 v[120:121], v[120:121], v[128:129]
	;; [unrolled: 1-line block ×4, first 2 shown]
	v_fma_f64 v[252:253], v[252:253], -0.5, v[162:163]
	v_add_f64 v[230:231], v[64:65], v[66:67]
	v_add_f64 v[172:173], v[55:56], -v[78:79]
	v_add_f64 v[110:111], v[110:111], v[112:113]
	v_add_f64 v[112:113], v[160:161], v[0:1]
	;; [unrolled: 1-line block ×3, first 2 shown]
	v_add_f64 v[186:187], v[84:85], -v[70:71]
	v_add_f64 v[180:181], v[180:181], v[182:183]
	v_fma_f64 v[86:87], v[86:87], -0.5, v[162:163]
	v_add_f64 v[182:183], v[50:51], -v[68:69]
	v_add_f64 v[64:65], v[76:77], -v[64:65]
	v_add_f64 v[162:163], v[200:201], v[202:203]
	v_fma_f64 v[200:201], v[149:150], s[16:17], v[92:93]
	v_fma_f64 v[92:93], v[149:150], s[14:15], v[92:93]
	v_fma_f64 v[104:105], v[104:105], -0.5, v[160:161]
	v_add_f64 v[76:77], v[218:219], v[76:77]
	v_fma_f64 v[158:159], v[158:159], -0.5, v[160:161]
	v_fma_f64 v[160:161], v[209:210], s[14:15], v[90:91]
	v_fma_f64 v[90:91], v[209:210], s[16:17], v[90:91]
	v_add_f64 v[168:169], v[168:169], v[26:27]
	v_add_f64 v[188:189], v[188:189], v[196:197]
	;; [unrolled: 1-line block ×3, first 2 shown]
	v_fma_f64 v[202:203], v[228:229], -0.5, v[130:131]
	v_fma_f64 v[204:205], v[216:217], s[16:17], v[108:109]
	v_fma_f64 v[108:109], v[216:217], s[14:15], v[108:109]
	;; [unrolled: 1-line block ×8, first 2 shown]
	v_add_f64 v[2:3], v[2:3], -v[10:11]
	v_add_f64 v[128:129], v[128:129], -v[62:63]
	;; [unrolled: 1-line block ×4, first 2 shown]
	v_add_f64 v[10:11], v[88:89], v[10:11]
	v_add_f64 v[62:63], v[120:121], v[62:63]
	;; [unrolled: 1-line block ×3, first 2 shown]
	v_fma_f64 v[120:121], v[143:144], s[16:17], v[164:165]
	v_fma_f64 v[151:152], v[143:144], s[14:15], v[164:165]
	v_add_f64 v[12:13], v[153:154], v[12:13]
	v_fma_f64 v[153:154], v[147:148], s[14:15], v[170:171]
	v_fma_f64 v[164:165], v[147:148], s[16:17], v[170:171]
	;; [unrolled: 1-line block ×4, first 2 shown]
	v_fma_f64 v[130:131], v[230:231], -0.5, v[130:131]
	v_fma_f64 v[230:231], v[172:173], s[14:15], v[86:87]
	v_fma_f64 v[86:87], v[172:173], s[16:17], v[86:87]
	v_add_f64 v[112:113], v[112:113], v[8:9]
	v_add_f64 v[102:103], v[102:103], -v[6:7]
	v_fma_f64 v[200:201], v[209:210], s[6:7], v[200:201]
	v_fma_f64 v[92:93], v[209:210], s[12:13], v[92:93]
	v_fma_f64 v[209:210], v[186:187], s[14:15], v[104:105]
	v_fma_f64 v[104:105], v[186:187], s[16:17], v[104:105]
	v_fma_f64 v[252:253], v[182:183], s[16:17], v[158:159]
	v_fma_f64 v[158:159], v[182:183], s[14:15], v[158:159]
	v_fma_f64 v[160:161], v[149:150], s[6:7], v[160:161]
	v_add_f64 v[168:169], v[168:169], v[14:15]
	v_fma_f64 v[90:91], v[149:150], s[12:13], v[90:91]
	v_add_f64 v[118:119], v[118:119], -v[36:37]
	v_add_f64 v[122:123], v[122:123], -v[137:138]
	v_fma_f64 v[204:205], v[96:97], s[6:7], v[204:205]
	v_fma_f64 v[96:97], v[96:97], s[12:13], v[108:109]
	v_fma_f64 v[108:109], v[216:217], s[6:7], v[207:208]
	v_fma_f64 v[106:107], v[216:217], s[12:13], v[106:107]
	v_fma_f64 v[207:208], v[166:167], s[6:7], v[218:219]
	v_fma_f64 v[139:140], v[166:167], s[12:13], v[139:140]
	v_fma_f64 v[166:167], v[133:134], s[6:7], v[228:229]
	v_fma_f64 v[133:134], v[133:134], s[12:13], v[135:136]
	ds_load_b64 v[135:136], v245
	ds_load_b64 v[216:217], v246
	;; [unrolled: 1-line block ×4, first 2 shown]
	v_add_f64 v[20:21], v[20:21], -v[16:17]
	v_add_f64 v[14:15], v[26:27], -v[14:15]
	s_waitcnt lgkmcnt(0)
	v_add_f64 v[6:7], v[10:11], v[6:7]
	v_add_f64 v[10:11], v[48:49], v[72:73]
	;; [unrolled: 1-line block ×3, first 2 shown]
	v_fma_f64 v[120:121], v[147:148], s[6:7], v[120:121]
	v_fma_f64 v[147:148], v[147:148], s[12:13], v[151:152]
	v_add_f64 v[151:152], v[57:58], -v[66:67]
	v_fma_f64 v[153:154], v[143:144], s[6:7], v[153:154]
	v_fma_f64 v[143:144], v[143:144], s[12:13], v[164:165]
	;; [unrolled: 1-line block ×4, first 2 shown]
	v_add_f64 v[164:165], v[114:115], v[34:35]
	v_fma_f64 v[230:231], v[178:179], s[6:7], v[230:231]
	v_add_f64 v[174:175], v[40:41], v[28:29]
	v_fma_f64 v[86:87], v[178:179], s[12:13], v[86:87]
	v_add_f64 v[112:113], v[112:113], v[4:5]
	v_add_f64 v[178:179], v[46:47], v[32:33]
	;; [unrolled: 1-line block ×3, first 2 shown]
	v_fma_f64 v[209:210], v[182:183], s[6:7], v[209:210]
	v_fma_f64 v[104:105], v[182:183], s[12:13], v[104:105]
	;; [unrolled: 1-line block ×4, first 2 shown]
	v_add_f64 v[186:187], v[42:43], v[30:31]
	v_add_f64 v[182:183], v[52:53], v[100:101]
	;; [unrolled: 1-line block ×4, first 2 shown]
	v_fma_f64 v[200:201], v[94:95], s[2:3], v[200:201]
	v_fma_f64 v[92:93], v[94:95], s[2:3], v[92:93]
	;; [unrolled: 1-line block ×3, first 2 shown]
	v_add_f64 v[18:19], v[22:23], -v[18:19]
	v_add_f64 v[22:23], v[55:56], v[78:79]
	v_fma_f64 v[82:83], v[82:83], s[2:3], v[90:91]
	v_fma_f64 v[90:91], v[110:111], s[2:3], v[204:205]
	;; [unrolled: 1-line block ×9, first 2 shown]
	v_add_f64 v[88:89], v[88:89], v[137:138]
	v_add_f64 v[12:13], v[12:13], v[16:17]
	v_fma_f64 v[120:121], v[176:177], s[2:3], v[120:121]
	v_fma_f64 v[133:134], v[176:177], s[2:3], v[147:148]
	v_add_f64 v[137:138], v[124:125], v[40:41]
	v_fma_f64 v[141:142], v[145:146], s[2:3], v[153:154]
	v_fma_f64 v[143:144], v[145:146], s[2:3], v[143:144]
	;; [unrolled: 1-line block ×4, first 2 shown]
	v_add_f64 v[170:171], v[50:51], v[68:69]
	v_add_f64 v[172:173], v[84:85], v[70:71]
	v_fma_f64 v[153:154], v[180:181], s[2:3], v[230:231]
	v_fma_f64 v[164:165], v[164:165], -0.5, v[124:125]
	v_fma_f64 v[86:87], v[180:181], s[2:3], v[86:87]
	v_fma_f64 v[124:125], v[174:175], -0.5, v[124:125]
	v_add_f64 v[112:113], v[112:113], v[80:81]
	v_fma_f64 v[160:161], v[188:189], s[2:3], v[209:210]
	v_fma_f64 v[104:105], v[188:189], s[2:3], v[104:105]
	;; [unrolled: 1-line block ×4, first 2 shown]
	v_add_f64 v[16:17], v[135:136], v[42:43]
	v_add_f64 v[162:163], v[216:217], v[60:61]
	;; [unrolled: 1-line block ×4, first 2 shown]
	v_fma_f64 v[151:152], v[178:179], -0.5, v[135:136]
	v_fma_f64 v[135:136], v[186:187], -0.5, v[135:136]
	;; [unrolled: 1-line block ×5, first 2 shown]
	s_barrier
	buffer_gl0_inv
	ds_store_2addr_b64 v132, v[6:7], v[94:95] offset1:3
	ds_store_2addr_b64 v132, v[200:201], v[92:93] offset0:6 offset1:9
	ds_store_b64 v132, v[82:83] offset:96
	ds_store_2addr_b64 v54, v[36:37], v[108:109] offset1:3
	ds_store_2addr_b64 v54, v[90:91], v[96:97] offset0:6 offset1:9
	ds_store_b64 v54, v[98:99] offset:96
	ds_store_2addr_b64 v39, v[88:89], v[139:140] offset1:3
	ds_store_2addr_b64 v39, v[106:107], v[110:111] offset0:6 offset1:9
	ds_store_b64 v39, v[126:127] offset:96
	ds_store_2addr_b64 v38, v[12:13], v[141:142] offset1:3
	ds_store_2addr_b64 v38, v[120:121], v[133:134] offset0:6 offset1:9
	ds_store_b64 v38, v[143:144] offset:96
	ds_store_2addr_b64 v44, v[168:169], v[153:154] offset1:3
	ds_store_2addr_b64 v44, v[145:146], v[147:148] offset0:6 offset1:9
	ds_store_b64 v44, v[86:87] offset:96
	ds_store_2addr_b64 v45, v[112:113], v[160:161] offset1:3
	ds_store_2addr_b64 v45, v[166:167], v[158:159] offset0:6 offset1:9
	ds_store_b64 v45, v[104:105] offset:96
	v_fma_f64 v[6:7], v[22:23], -0.5, v[218:219]
	v_add_f64 v[82:83], v[228:229], v[84:85]
	v_add_f64 v[0:1], v[0:1], -v[80:81]
	v_add_f64 v[4:5], v[8:9], -v[4:5]
	v_fma_f64 v[149:150], v[102:103], s[16:17], v[202:203]
	v_fma_f64 v[80:81], v[170:171], -0.5, v[228:229]
	v_fma_f64 v[8:9], v[172:173], -0.5, v[228:229]
	v_fma_f64 v[176:177], v[2:3], s[14:15], v[130:131]
	v_fma_f64 v[130:131], v[2:3], s[16:17], v[130:131]
	;; [unrolled: 1-line block ×3, first 2 shown]
	v_add_f64 v[62:63], v[40:41], -v[114:115]
	v_add_f64 v[12:13], v[28:29], -v[34:35]
	v_add_f64 v[22:23], v[137:138], v[114:115]
	v_add_f64 v[36:37], v[114:115], -v[40:41]
	v_fma_f64 v[40:41], v[118:119], s[16:17], v[164:165]
	v_fma_f64 v[86:87], v[118:119], s[14:15], v[164:165]
	;; [unrolled: 1-line block ×4, first 2 shown]
	v_add_f64 v[92:93], v[34:35], -v[28:29]
	v_add_f64 v[94:95], v[42:43], -v[46:47]
	;; [unrolled: 1-line block ×3, first 2 shown]
	v_add_f64 v[16:17], v[16:17], v[46:47]
	v_add_f64 v[42:43], v[46:47], -v[42:43]
	v_fma_f64 v[46:47], v[122:123], s[16:17], v[151:152]
	v_fma_f64 v[98:99], v[122:123], s[14:15], v[151:152]
	v_fma_f64 v[104:105], v[116:117], s[14:15], v[135:136]
	v_fma_f64 v[106:107], v[116:117], s[16:17], v[135:136]
	v_add_f64 v[110:111], v[60:61], -v[52:53]
	v_add_f64 v[112:113], v[74:75], -v[100:101]
	v_add_f64 v[114:115], v[162:163], v[52:53]
	v_add_f64 v[52:53], v[52:53], -v[60:61]
	v_fma_f64 v[59:60], v[20:21], s[16:17], v[174:175]
	v_fma_f64 v[124:125], v[24:25], s[14:15], v[76:77]
	;; [unrolled: 1-line block ×3, first 2 shown]
	v_add_f64 v[133:134], v[55:56], -v[48:49]
	v_add_f64 v[135:136], v[78:79], -v[72:73]
	v_add_f64 v[26:27], v[26:27], v[48:49]
	v_add_f64 v[48:49], v[48:49], -v[55:56]
	v_fma_f64 v[55:56], v[18:19], s[16:17], v[10:11]
	v_fma_f64 v[10:11], v[18:19], s[14:15], v[10:11]
	v_add_f64 v[108:109], v[32:33], -v[30:31]
	v_add_f64 v[126:127], v[100:101], -v[74:75]
	v_fma_f64 v[137:138], v[14:15], s[14:15], v[6:7]
	v_fma_f64 v[6:7], v[14:15], s[16:17], v[6:7]
	v_add_f64 v[139:140], v[72:73], -v[78:79]
	v_fma_f64 v[120:121], v[20:21], s[14:15], v[174:175]
	v_add_f64 v[141:142], v[84:85], -v[50:51]
	v_add_f64 v[143:144], v[70:71], -v[68:69]
	v_add_f64 v[82:83], v[82:83], v[50:51]
	v_add_f64 v[50:51], v[50:51], -v[84:85]
	v_add_f64 v[84:85], v[68:69], -v[70:71]
	v_fma_f64 v[145:146], v[4:5], s[14:15], v[8:9]
	v_fma_f64 v[147:148], v[0:1], s[16:17], v[80:81]
	v_fma_f64 v[8:9], v[4:5], s[16:17], v[8:9]
	v_fma_f64 v[80:81], v[0:1], s[14:15], v[80:81]
	v_fma_f64 v[149:150], v[2:3], s[12:13], v[149:150]
	v_fma_f64 v[158:159], v[102:103], s[12:13], v[176:177]
	v_fma_f64 v[102:103], v[102:103], s[6:7], v[130:131]
	v_fma_f64 v[130:131], v[2:3], s[6:7], v[178:179]
	v_add_f64 v[12:13], v[62:63], v[12:13]
	v_fma_f64 v[40:41], v[128:129], s[12:13], v[40:41]
	v_add_f64 v[22:23], v[22:23], v[34:35]
	v_fma_f64 v[61:62], v[128:129], s[6:7], v[86:87]
	;; [unrolled: 2-line block ×3, first 2 shown]
	v_fma_f64 v[86:87], v[118:119], s[6:7], v[90:91]
	v_add_f64 v[88:89], v[94:95], v[96:97]
	v_fma_f64 v[46:47], v[116:117], s[12:13], v[46:47]
	v_fma_f64 v[90:91], v[116:117], s[6:7], v[98:99]
	v_add_f64 v[16:17], v[16:17], v[32:33]
	v_add_f64 v[94:95], v[110:111], v[112:113]
	v_fma_f64 v[59:60], v[24:25], s[12:13], v[59:60]
	v_add_f64 v[96:97], v[114:115], v[100:101]
	v_fma_f64 v[98:99], v[20:21], s[12:13], v[124:125]
	v_fma_f64 v[20:21], v[20:21], s[6:7], v[76:77]
	v_add_f64 v[76:77], v[133:134], v[135:136]
	v_fma_f64 v[55:56], v[14:15], s[12:13], v[55:56]
	v_fma_f64 v[10:11], v[14:15], s[6:7], v[10:11]
	v_add_f64 v[14:15], v[26:27], v[72:73]
	v_add_f64 v[32:33], v[42:43], v[108:109]
	v_fma_f64 v[42:43], v[122:123], s[12:13], v[104:105]
	v_fma_f64 v[92:93], v[122:123], s[6:7], v[106:107]
	v_add_f64 v[52:53], v[52:53], v[126:127]
	v_add_f64 v[26:27], v[48:49], v[139:140]
	v_fma_f64 v[48:49], v[18:19], s[12:13], v[137:138]
	v_fma_f64 v[18:19], v[18:19], s[6:7], v[6:7]
	;; [unrolled: 1-line block ×3, first 2 shown]
	v_add_f64 v[72:73], v[141:142], v[143:144]
	v_add_f64 v[68:69], v[82:83], v[68:69]
	;; [unrolled: 1-line block ×3, first 2 shown]
	v_fma_f64 v[82:83], v[0:1], s[12:13], v[145:146]
	v_fma_f64 v[84:85], v[4:5], s[12:13], v[147:148]
	;; [unrolled: 1-line block ×4, first 2 shown]
	v_add_f64 v[57:58], v[57:58], v[66:67]
	v_fma_f64 v[66:67], v[196:197], s[2:3], v[149:150]
	v_fma_f64 v[100:101], v[64:65], s[2:3], v[158:159]
	;; [unrolled: 1-line block ×4, first 2 shown]
	v_add_f64 v[104:105], v[22:23], v[28:29]
	v_fma_f64 v[40:41], v[12:13], s[2:3], v[40:41]
	v_fma_f64 v[61:62], v[12:13], s[2:3], v[61:62]
	;; [unrolled: 1-line block ×4, first 2 shown]
	s_waitcnt lgkmcnt(0)
	v_fma_f64 v[46:47], v[88:89], s[2:3], v[46:47]
	v_fma_f64 v[88:89], v[88:89], s[2:3], v[90:91]
	v_add_f64 v[106:107], v[16:17], v[30:31]
	s_barrier
	v_fma_f64 v[59:60], v[94:95], s[2:3], v[59:60]
	v_add_f64 v[74:75], v[96:97], v[74:75]
	buffer_gl0_inv
	ds_load_b64 v[150:151], v223
	ds_load_b64 v[144:145], v245
	;; [unrolled: 1-line block ×7, first 2 shown]
	ds_load_b64 v[152:153], v223 offset:29000
	ds_load_2addr_b64 v[4:7], v225 offset0:95 offset1:220
	ds_load_2addr_b64 v[0:3], v240 offset0:77 offset1:202
	v_fma_f64 v[55:56], v[76:77], s[2:3], v[55:56]
	v_fma_f64 v[76:77], v[76:77], s[2:3], v[10:11]
	v_add_f64 v[78:79], v[14:15], v[78:79]
	v_fma_f64 v[42:43], v[32:33], s[2:3], v[42:43]
	v_fma_f64 v[92:93], v[32:33], s[2:3], v[92:93]
	;; [unrolled: 1-line block ×7, first 2 shown]
	v_add_f64 v[68:69], v[68:69], v[70:71]
	v_fma_f64 v[70:71], v[50:51], s[2:3], v[82:83]
	v_fma_f64 v[82:83], v[72:73], s[2:3], v[84:85]
	;; [unrolled: 1-line block ×4, first 2 shown]
	ds_load_2addr_b64 v[8:11], v235 offset0:59 offset1:184
	ds_load_2addr_b64 v[116:119], v227 offset0:107 offset1:232
	;; [unrolled: 1-line block ×9, first 2 shown]
	s_waitcnt lgkmcnt(0)
	s_barrier
	buffer_gl0_inv
	ds_store_2addr_b64 v132, v[57:58], v[66:67] offset1:3
	ds_store_2addr_b64 v132, v[100:101], v[63:64] offset0:6 offset1:9
	v_mul_lo_u16 v57, 0x89, v192
	ds_store_b64 v132, v[102:103] offset:96
	ds_store_2addr_b64 v54, v[104:105], v[40:41] offset1:3
	ds_store_2addr_b64 v54, v[36:37], v[86:87] offset0:6 offset1:9
	ds_store_b64 v54, v[61:62] offset:96
	v_mul_u32_u24_e32 v36, 0x8889, v191
	ds_store_2addr_b64 v39, v[106:107], v[46:47] offset1:3
	ds_store_2addr_b64 v39, v[42:43], v[92:93] offset0:6 offset1:9
	ds_store_b64 v39, v[88:89] offset:96
	v_lshrrev_b16 v252, 11, v57
	v_lshrrev_b32_e32 v188, 19, v36
	ds_store_2addr_b64 v38, v[74:75], v[59:60] offset1:3
	ds_store_2addr_b64 v38, v[90:91], v[52:53] offset0:6 offset1:9
	ds_store_b64 v38, v[94:95] offset:96
	ds_store_2addr_b64 v44, v[78:79], v[55:56] offset1:3
	ds_store_2addr_b64 v44, v[48:49], v[96:97] offset0:6 offset1:9
	ds_store_b64 v44, v[76:77] offset:96
	v_mul_lo_u16 v36, v252, 15
	v_mul_lo_u16 v37, v188, 15
	ds_store_2addr_b64 v45, v[68:69], v[82:83] offset1:3
	ds_store_2addr_b64 v45, v[70:71], v[50:51] offset0:6 offset1:9
	ds_store_b64 v45, v[72:73] offset:96
	v_sub_nc_u16 v36, v214, v36
	v_sub_nc_u16 v37, v215, v37
	s_waitcnt lgkmcnt(0)
	s_barrier
	buffer_gl0_inv
	v_and_b32_e32 v253, 0xff, v36
	v_and_b32_e32 v189, 0xffff, v37
	v_mul_u32_u24_e32 v36, 0x8889, v249
	v_mul_u32_u24_e32 v42, 0x8889, v250
	v_mul_lo_u16 v45, 0x89, v251
	v_lshlrev_b32_e32 v40, 6, v253
	v_lshlrev_b32_e32 v44, 6, v189
	s_clause 0x3
	global_load_b128 v[120:123], v40, s[4:5] offset:192
	global_load_b128 v[124:127], v44, s[4:5] offset:192
	;; [unrolled: 1-line block ×4, first 2 shown]
	v_lshrrev_b32_e32 v196, 19, v36
	v_lshrrev_b32_e32 v249, 19, v42
	s_clause 0x2
	global_load_b128 v[207:210], v40, s[4:5] offset:224
	global_load_b128 v[36:39], v44, s[4:5] offset:224
	global_load_b128 v[48:51], v44, s[4:5] offset:240
	v_mul_lo_u16 v41, v196, 15
	v_mul_lo_u16 v46, v249, 15
	v_lshrrev_b16 v197, 11, v45
	v_lshlrev_b32_e32 v198, 3, v253
	s_delay_alu instid0(VALU_DEP_4) | instskip(NEXT) | instid1(VALU_DEP_4)
	v_sub_nc_u16 v41, v222, v41
	v_sub_nc_u16 v52, v224, v46
	s_delay_alu instid0(VALU_DEP_4) | instskip(NEXT) | instid1(VALU_DEP_3)
	v_mul_lo_u16 v53, v197, 15
	v_and_b32_e32 v250, 0xffff, v41
	global_load_b128 v[40:43], v40, s[4:5] offset:240
	v_and_b32_e32 v251, 0xffff, v52
	v_sub_nc_u16 v52, v206, v53
	v_lshlrev_b32_e32 v72, 6, v250
	s_delay_alu instid0(VALU_DEP_3) | instskip(NEXT) | instid1(VALU_DEP_3)
	v_lshlrev_b32_e32 v73, 6, v251
	v_and_b32_e32 v200, 0xff, v52
	s_clause 0x1
	global_load_b128 v[44:47], v72, s[4:5] offset:192
	global_load_b128 v[52:55], v73, s[4:5] offset:192
	v_lshlrev_b32_e32 v74, 6, v200
	s_clause 0x5
	global_load_b128 v[60:63], v74, s[4:5] offset:192
	global_load_b128 v[56:59], v72, s[4:5] offset:208
	;; [unrolled: 1-line block ×6, first 2 shown]
	v_mul_u32_u24_e32 v74, 0x8889, v193
	s_clause 0x2
	global_load_b128 v[88:91], v72, s[4:5] offset:224
	global_load_b128 v[76:79], v73, s[4:5] offset:224
	;; [unrolled: 1-line block ×3, first 2 shown]
	v_lshrrev_b32_e32 v254, 19, v74
	s_delay_alu instid0(VALU_DEP_1) | instskip(NEXT) | instid1(VALU_DEP_1)
	v_mul_lo_u16 v74, v254, 15
	v_sub_nc_u16 v74, v242, v74
	s_delay_alu instid0(VALU_DEP_1) | instskip(NEXT) | instid1(VALU_DEP_1)
	v_and_b32_e32 v255, 0xffff, v74
	v_lshlrev_b32_e32 v104, 6, v255
	s_clause 0x4
	global_load_b128 v[92:95], v73, s[4:5] offset:240
	global_load_b128 v[80:83], v104, s[4:5] offset:192
	;; [unrolled: 1-line block ×5, first 2 shown]
	ds_load_2addr_b64 v[164:167], v227 offset0:107 offset1:232
	ds_load_2addr_b64 v[216:219], v239 offset0:89 offset1:214
	;; [unrolled: 1-line block ×5, first 2 shown]
	s_waitcnt vmcnt(23) lgkmcnt(4)
	v_mul_f64 v[158:159], v[164:165], v[122:123]
	s_waitcnt vmcnt(22)
	v_mul_f64 v[160:161], v[166:167], v[126:127]
	v_mul_f64 v[126:127], v[118:119], v[126:127]
	v_mul_f64 v[122:123], v[116:117], v[122:123]
	s_waitcnt vmcnt(21) lgkmcnt(3)
	v_mul_f64 v[228:229], v[216:217], v[186:187]
	s_waitcnt vmcnt(20)
	v_mul_f64 v[230:231], v[218:219], v[203:204]
	v_mul_f64 v[203:204], v[114:115], v[203:204]
	;; [unrolled: 1-line block ×3, first 2 shown]
	s_waitcnt vmcnt(18) lgkmcnt(2)
	v_mul_f64 v[182:183], v[134:135], v[38:39]
	v_mul_f64 v[180:181], v[34:35], v[38:39]
	s_waitcnt vmcnt(17) lgkmcnt(1)
	v_mul_f64 v[176:177], v[138:139], v[50:51]
	v_mul_f64 v[170:171], v[30:31], v[50:51]
	;; [unrolled: 1-line block ×4, first 2 shown]
	s_waitcnt vmcnt(16)
	v_mul_f64 v[168:169], v[136:137], v[42:43]
	v_mul_f64 v[174:175], v[28:29], v[42:43]
	s_waitcnt vmcnt(15) lgkmcnt(0)
	v_mul_f64 v[172:173], v[128:129], v[46:47]
	v_mul_f64 v[178:179], v[24:25], v[46:47]
	v_fma_f64 v[162:163], v[116:117], v[120:121], -v[158:159]
	v_fma_f64 v[160:161], v[118:119], v[124:125], -v[160:161]
	v_fma_f64 v[38:39], v[166:167], v[124:125], v[126:127]
	ds_load_b64 v[166:167], v243
	v_fma_f64 v[158:159], v[164:165], v[120:121], v[122:123]
	ds_load_2addr_b64 v[116:119], v236 offset0:83 offset1:208
	ds_load_2addr_b64 v[120:123], v225 offset0:95 offset1:220
	v_fma_f64 v[164:165], v[112:113], v[184:185], -v[228:229]
	v_fma_f64 v[50:51], v[114:115], v[201:202], -v[230:231]
	ds_load_2addr_b64 v[112:115], v235 offset0:59 offset1:184
	v_fma_f64 v[42:43], v[218:219], v[201:202], v[203:204]
	ds_load_2addr_b64 v[124:127], v240 offset0:77 offset1:202
	ds_load_b64 v[201:202], v244
	v_fma_f64 v[46:47], v[216:217], v[184:185], v[186:187]
	s_waitcnt vmcnt(14)
	v_mul_f64 v[184:185], v[26:27], v[54:55]
	v_mul_f64 v[186:187], v[130:131], v[54:55]
	v_fma_f64 v[182:183], v[34:35], v[36:37], -v[182:183]
	v_fma_f64 v[36:37], v[134:135], v[36:37], v[180:181]
	v_fma_f64 v[54:55], v[32:33], v[207:208], -v[193:194]
	v_fma_f64 v[32:33], v[132:133], v[207:208], v[209:210]
	ds_load_b64 v[193:194], v223 offset:29000
	v_fma_f64 v[168:169], v[28:29], v[40:41], -v[168:169]
	v_fma_f64 v[34:35], v[136:137], v[40:41], v[174:175]
	v_fma_f64 v[174:175], v[30:31], v[48:49], -v[176:177]
	s_waitcnt vmcnt(13) lgkmcnt(6)
	v_mul_f64 v[203:204], v[166:167], v[62:63]
	v_mul_f64 v[62:63], v[154:155], v[62:63]
	s_waitcnt vmcnt(12) lgkmcnt(5)
	v_mul_f64 v[180:181], v[116:117], v[58:59]
	v_mul_f64 v[58:59], v[20:21], v[58:59]
	s_waitcnt vmcnt(10)
	v_mul_f64 v[40:41], v[118:119], v[66:67]
	v_fma_f64 v[28:29], v[138:139], v[48:49], v[170:171]
	s_waitcnt vmcnt(9) lgkmcnt(4)
	v_mul_f64 v[48:49], v[122:123], v[110:111]
	v_mul_f64 v[110:111], v[6:7], v[110:111]
	s_waitcnt vmcnt(8) lgkmcnt(2)
	v_mul_f64 v[170:171], v[126:127], v[102:103]
	v_fma_f64 v[176:177], v[24:25], v[44:45], -v[172:173]
	v_fma_f64 v[30:31], v[128:129], v[44:45], v[178:179]
	v_mul_f64 v[44:45], v[2:3], v[102:103]
	ds_load_b64 v[102:103], v223
	v_mul_f64 v[207:208], v[114:115], v[70:71]
	ds_load_2addr_b64 v[136:139], v241 offset0:47 offset1:172
	ds_load_2addr_b64 v[132:135], v237 offset0:65 offset1:190
	v_mul_f64 v[66:67], v[22:23], v[66:67]
	v_mul_f64 v[70:71], v[10:11], v[70:71]
	v_lshl_add_u32 v172, v190, 3, 0
	v_fma_f64 v[24:25], v[130:131], v[52:53], v[184:185]
	v_fma_f64 v[26:27], v[26:27], v[52:53], -v[186:187]
	s_waitcnt vmcnt(7)
	v_mul_f64 v[52:53], v[16:17], v[90:91]
	v_add_f64 v[209:210], v[42:43], -v[36:37]
	s_waitcnt lgkmcnt(0)
	v_mul_f64 v[128:129], v[132:133], v[90:91]
	s_waitcnt vmcnt(6)
	v_mul_f64 v[90:91], v[134:135], v[78:79]
	v_mul_f64 v[78:79], v[18:19], v[78:79]
	v_fma_f64 v[130:131], v[154:155], v[60:61], -v[203:204]
	s_waitcnt vmcnt(5)
	v_mul_f64 v[154:155], v[136:137], v[86:87]
	v_fma_f64 v[60:61], v[166:167], v[60:61], v[62:63]
	v_mul_f64 v[62:63], v[12:13], v[86:87]
	s_waitcnt vmcnt(4)
	v_mul_f64 v[86:87], v[138:139], v[94:95]
	v_mul_f64 v[94:95], v[14:15], v[94:95]
	v_fma_f64 v[20:21], v[20:21], v[56:57], -v[180:181]
	v_fma_f64 v[56:57], v[116:117], v[56:57], v[58:59]
	s_waitcnt vmcnt(3)
	v_mul_f64 v[58:59], v[120:121], v[82:83]
	v_fma_f64 v[22:23], v[22:23], v[64:65], -v[40:41]
	s_waitcnt vmcnt(2)
	v_mul_f64 v[40:41], v[124:125], v[74:75]
	s_waitcnt vmcnt(1)
	v_mul_f64 v[116:117], v[112:113], v[98:99]
	v_fma_f64 v[48:49], v[6:7], v[108:109], -v[48:49]
	v_fma_f64 v[108:109], v[122:123], v[108:109], v[110:111]
	s_waitcnt vmcnt(0)
	v_mul_f64 v[110:111], v[193:194], v[106:107]
	v_fma_f64 v[122:123], v[2:3], v[100:101], -v[170:171]
	v_fma_f64 v[100:101], v[126:127], v[100:101], v[44:45]
	v_mul_f64 v[44:45], v[8:9], v[98:99]
	v_fma_f64 v[166:167], v[10:11], v[68:69], -v[207:208]
	v_mul_f64 v[82:83], v[4:5], v[82:83]
	v_mul_f64 v[98:99], v[152:153], v[106:107]
	v_and_b32_e32 v2, 0xffff, v197
	v_and_b32_e32 v3, 0xffff, v252
	v_mul_f64 v[74:75], v[0:1], v[74:75]
	v_fma_f64 v[68:69], v[114:115], v[68:69], v[70:71]
	v_fma_f64 v[64:65], v[118:119], v[64:65], v[66:67]
	v_mul_u32_u24_e32 v173, 0x258, v2
	v_mul_u32_u24_e32 v190, 0x258, v3
	v_add_f64 v[126:127], v[46:47], -v[32:33]
	v_lshlrev_b32_e32 v197, 3, v200
	v_fma_f64 v[6:7], v[132:133], v[88:89], v[52:53]
	s_delay_alu instid0(VALU_DEP_2)
	v_add3_u32 v173, 0, v173, v197
	v_fma_f64 v[16:17], v[16:17], v[88:89], -v[128:129]
	v_fma_f64 v[18:19], v[18:19], v[76:77], -v[90:91]
	v_fma_f64 v[2:3], v[134:135], v[76:77], v[78:79]
	v_add_f64 v[76:77], v[162:163], v[168:169]
	v_fma_f64 v[106:107], v[12:13], v[84:85], -v[154:155]
	v_add_f64 v[90:91], v[164:165], -v[162:163]
	v_fma_f64 v[10:11], v[136:137], v[84:85], v[62:63]
	v_fma_f64 v[52:53], v[14:15], v[92:93], -v[86:87]
	v_fma_f64 v[12:13], v[138:139], v[92:93], v[94:95]
	v_add_f64 v[84:85], v[164:165], v[54:55]
	v_add_f64 v[92:93], v[160:161], v[174:175]
	v_fma_f64 v[4:5], v[4:5], v[80:81], -v[58:59]
	v_add_f64 v[94:95], v[54:55], -v[168:169]
	v_fma_f64 v[62:63], v[0:1], v[72:73], -v[40:41]
	v_fma_f64 v[8:9], v[8:9], v[96:97], -v[116:117]
	v_add_f64 v[116:117], v[182:183], -v[174:175]
	v_add_f64 v[132:133], v[176:177], -v[20:21]
	v_fma_f64 v[66:67], v[152:153], v[104:105], -v[110:111]
	v_add_f64 v[40:41], v[48:49], v[122:123]
	v_add_f64 v[136:137], v[20:21], -v[176:177]
	v_fma_f64 v[0:1], v[112:113], v[96:97], v[44:45]
	v_add_f64 v[44:45], v[150:151], v[130:131]
	v_add_f64 v[70:71], v[130:131], v[166:167]
	v_fma_f64 v[58:59], v[120:121], v[80:81], v[82:83]
	v_fma_f64 v[14:15], v[193:194], v[104:105], v[98:99]
	v_add_f64 v[80:81], v[48:49], -v[130:131]
	v_add_f64 v[82:83], v[122:123], -v[166:167]
	v_add_f64 v[104:105], v[50:51], v[182:183]
	v_fma_f64 v[72:73], v[124:125], v[72:73], v[74:75]
	v_add_f64 v[74:75], v[130:131], -v[48:49]
	v_add_f64 v[78:79], v[166:167], -v[122:123]
	;; [unrolled: 1-line block ×10, first 2 shown]
	v_add_f64 v[203:204], v[22:23], v[18:19]
	v_add_f64 v[110:111], v[108:109], -v[100:101]
	v_fma_f64 v[76:77], v[76:77], -0.5, v[148:149]
	v_add_f64 v[114:115], v[176:177], v[106:107]
	v_add_f64 v[134:135], v[106:107], -v[16:17]
	v_add_f64 v[138:139], v[16:17], -v[106:107]
	;; [unrolled: 1-line block ×3, first 2 shown]
	v_add_f64 v[170:171], v[26:27], v[52:53]
	v_add_f64 v[180:181], v[18:19], -v[52:53]
	v_fma_f64 v[84:85], v[84:85], -0.5, v[148:149]
	v_add_f64 v[120:121], v[20:21], v[16:17]
	v_add_f64 v[96:97], v[160:161], -v[50:51]
	v_add_f64 v[98:99], v[174:175], -v[182:183]
	v_add_f64 v[228:229], v[62:63], v[8:9]
	v_add_f64 v[128:129], v[38:39], -v[28:29]
	v_add_f64 v[218:219], v[56:57], -v[6:7]
	;; [unrolled: 1-line block ×3, first 2 shown]
	v_fma_f64 v[40:41], v[40:41], -0.5, v[150:151]
	v_add_f64 v[148:149], v[148:149], v[162:163]
	v_add_f64 v[90:91], v[90:91], v[94:95]
	;; [unrolled: 1-line block ×3, first 2 shown]
	v_fma_f64 v[48:49], v[92:93], -0.5, v[144:145]
	v_add_f64 v[92:93], v[4:5], v[66:67]
	v_fma_f64 v[70:71], v[70:71], -0.5, v[150:151]
	v_add_f64 v[150:151], v[62:63], -v[4:5]
	v_add_f64 v[80:81], v[80:81], v[82:83]
	v_fma_f64 v[104:105], v[104:105], -0.5, v[144:145]
	v_add_f64 v[94:95], v[142:143], v[26:27]
	v_add_f64 v[230:231], v[72:73], -v[0:1]
	v_add_f64 v[74:75], v[74:75], v[78:79]
	v_add_f64 v[78:79], v[64:65], -v[2:3]
	;; [unrolled: 2-line block ×3, first 2 shown]
	v_add_f64 v[184:185], v[4:5], -v[62:63]
	v_add_f64 v[186:187], v[66:67], -v[8:9]
	v_add_f64 v[144:145], v[144:145], v[160:161]
	v_add_f64 v[216:217], v[30:31], -v[10:11]
	v_add_f64 v[86:87], v[86:87], v[88:89]
	v_add_f64 v[130:131], v[130:131], -v[166:167]
	v_add_f64 v[26:27], v[26:27], -v[52:53]
	v_add_nc_u32_e32 v197, 0x4c00, v223
	v_fma_f64 v[82:83], v[114:115], -0.5, v[146:147]
	v_add_f64 v[132:133], v[132:133], v[134:135]
	v_add_f64 v[134:135], v[58:59], -v[14:15]
	v_add_f64 v[136:137], v[136:137], v[138:139]
	v_add_f64 v[138:139], v[152:153], v[154:155]
	v_fma_f64 v[170:171], v[170:171], -0.5, v[142:143]
	v_fma_f64 v[142:143], v[203:204], -0.5, v[142:143]
	v_fma_f64 v[203:204], v[126:127], s[16:17], v[76:77]
	v_fma_f64 v[76:77], v[126:127], s[14:15], v[76:77]
	v_add_f64 v[178:179], v[178:179], v[180:181]
	v_fma_f64 v[180:181], v[124:125], s[14:15], v[84:85]
	v_fma_f64 v[84:85], v[124:125], s[16:17], v[84:85]
	v_fma_f64 v[228:229], v[228:229], -0.5, v[140:141]
	v_fma_f64 v[120:121], v[120:121], -0.5, v[146:147]
	v_fma_f64 v[152:153], v[118:119], s[14:15], v[40:41]
	v_fma_f64 v[154:155], v[118:119], s[16:17], v[40:41]
	v_add_f64 v[146:147], v[146:147], v[176:177]
	v_add_f64 v[96:97], v[96:97], v[98:99]
	;; [unrolled: 1-line block ×3, first 2 shown]
	v_fma_f64 v[92:93], v[92:93], -0.5, v[140:141]
	v_fma_f64 v[88:89], v[110:111], s[16:17], v[70:71]
	v_fma_f64 v[70:71], v[110:111], s[14:15], v[70:71]
	v_add_f64 v[140:141], v[150:151], v[193:194]
	v_fma_f64 v[150:151], v[128:129], s[14:15], v[104:105]
	v_fma_f64 v[104:105], v[128:129], s[16:17], v[104:105]
	v_add_f64 v[252:253], v[44:45], v[122:123]
	v_add_f64 v[148:149], v[148:149], v[164:165]
	v_add3_u32 v40, 0, v190, v198
	v_add_f64 v[94:95], v[94:95], v[22:23]
	v_add_f64 v[122:123], v[102:103], v[60:61]
	;; [unrolled: 1-line block ×4, first 2 shown]
	v_fma_f64 v[186:187], v[209:210], s[16:17], v[48:49]
	v_fma_f64 v[48:49], v[209:210], s[14:15], v[48:49]
	v_add_f64 v[144:145], v[144:145], v[50:51]
	v_mul_u32_u24_e32 v41, 0x258, v188
	v_mul_u32_u24_e32 v190, 0x258, v254
	v_add_f64 v[4:5], v[4:5], -v[66:67]
	v_fma_f64 v[44:45], v[218:219], s[16:17], v[82:83]
	v_fma_f64 v[82:83], v[218:219], s[14:15], v[82:83]
	v_add_nc_u32_e32 v254, 0x5400, v223
	v_add_nc_u32_e32 v193, 0x3400, v223
	v_fma_f64 v[203:204], v[124:125], s[6:7], v[203:204]
	v_fma_f64 v[76:77], v[124:125], s[12:13], v[76:77]
	v_fma_f64 v[124:125], v[116:117], s[14:15], v[142:143]
	v_fma_f64 v[142:143], v[116:117], s[16:17], v[142:143]
	v_fma_f64 v[180:181], v[126:127], s[6:7], v[180:181]
	v_fma_f64 v[84:85], v[126:127], s[12:13], v[84:85]
	v_fma_f64 v[126:127], v[134:135], s[14:15], v[228:229]
	v_fma_f64 v[152:153], v[110:111], s[6:7], v[152:153]
	v_fma_f64 v[110:111], v[110:111], s[12:13], v[154:155]
	v_fma_f64 v[154:155], v[78:79], s[16:17], v[170:171]
	v_fma_f64 v[170:171], v[78:79], s[14:15], v[170:171]
	v_fma_f64 v[228:229], v[134:135], s[16:17], v[228:229]
	v_fma_f64 v[198:199], v[230:231], s[16:17], v[92:93]
	v_fma_f64 v[92:93], v[230:231], s[14:15], v[92:93]
	v_fma_f64 v[88:89], v[118:119], s[6:7], v[88:89]
	v_fma_f64 v[70:71], v[118:119], s[12:13], v[70:71]
	v_fma_f64 v[118:119], v[216:217], s[14:15], v[120:121]
	v_add_f64 v[146:147], v[146:147], v[20:21]
	v_fma_f64 v[194:195], v[216:217], s[16:17], v[120:121]
	v_add_f64 v[98:99], v[98:99], v[62:63]
	v_fma_f64 v[150:151], v[209:210], s[6:7], v[150:151]
	v_fma_f64 v[104:105], v[209:210], s[12:13], v[104:105]
	v_add_f64 v[209:210], v[60:61], -v[108:109]
	v_add_f64 v[148:149], v[148:149], v[54:55]
	v_add_f64 v[94:95], v[94:95], v[18:19]
	v_fma_f64 v[186:187], v[128:129], s[6:7], v[186:187]
	v_fma_f64 v[128:129], v[128:129], s[12:13], v[48:49]
	v_add_f64 v[144:145], v[144:145], v[182:183]
	v_add_f64 v[166:167], v[252:253], v[166:167]
	v_add_f64 v[54:55], v[164:165], -v[54:55]
	v_add_f64 v[164:165], v[30:31], v[10:11]
	v_fma_f64 v[211:212], v[216:217], s[6:7], v[44:45]
	v_fma_f64 v[82:83], v[216:217], s[12:13], v[82:83]
	v_add_f64 v[216:217], v[68:69], -v[100:101]
	v_lshlrev_b32_e32 v44, 3, v189
	v_add_f64 v[188:189], v[122:123], v[108:109]
	v_lshlrev_b32_e32 v122, 3, v251
	v_add_f64 v[251:252], v[46:47], v[32:33]
	v_fma_f64 v[114:115], v[114:115], -0.5, v[102:103]
	v_fma_f64 v[76:77], v[90:91], s[2:3], v[76:77]
	v_fma_f64 v[124:125], v[78:79], s[6:7], v[124:125]
	;; [unrolled: 1-line block ×3, first 2 shown]
	v_add3_u32 v45, 0, v41, v44
	v_fma_f64 v[84:85], v[86:87], s[2:3], v[84:85]
	v_fma_f64 v[126:127], v[230:231], s[6:7], v[126:127]
	v_mul_u32_u24_e32 v41, 0x258, v196
	v_lshlrev_b32_e32 v44, 3, v250
	v_fma_f64 v[154:155], v[116:117], s[6:7], v[154:155]
	v_fma_f64 v[116:117], v[116:117], s[12:13], v[170:171]
	v_fma_f64 v[142:143], v[230:231], s[12:13], v[228:229]
	v_fma_f64 v[170:171], v[134:135], s[6:7], v[198:199]
	v_fma_f64 v[92:93], v[134:135], s[12:13], v[92:93]
	v_fma_f64 v[88:89], v[80:81], s[2:3], v[88:89]
	v_fma_f64 v[70:71], v[80:81], s[2:3], v[70:71]
	v_fma_f64 v[118:119], v[218:219], s[6:7], v[118:119]
	v_add_f64 v[146:147], v[146:147], v[16:17]
	v_fma_f64 v[194:195], v[218:219], s[12:13], v[194:195]
	v_add_f64 v[98:99], v[98:99], v[8:9]
	v_fma_f64 v[80:81], v[74:75], s[2:3], v[152:153]
	v_fma_f64 v[74:75], v[74:75], s[2:3], v[110:111]
	;; [unrolled: 1-line block ×3, first 2 shown]
	v_add_f64 v[148:149], v[148:149], v[168:169]
	v_fma_f64 v[90:91], v[86:87], s[2:3], v[180:181]
	v_fma_f64 v[86:87], v[112:113], s[2:3], v[186:187]
	;; [unrolled: 1-line block ×5, first 2 shown]
	v_add_f64 v[144:145], v[144:145], v[174:175]
	v_add_f64 v[94:95], v[94:95], v[52:53]
	v_fma_f64 v[104:105], v[136:137], s[2:3], v[211:212]
	v_fma_f64 v[82:83], v[136:137], s[2:3], v[82:83]
	v_add_f64 v[209:210], v[209:210], v[216:217]
	v_add_f64 v[216:217], v[60:61], v[68:69]
	v_add_f64 v[60:61], v[108:109], -v[60:61]
	v_add_f64 v[108:109], v[158:159], v[34:35]
	v_add_f64 v[150:151], v[162:163], -v[168:169]
	v_add_f64 v[162:163], v[56:57], v[6:7]
	v_add_f64 v[168:169], v[64:65], v[2:3]
	v_fma_f64 v[124:125], v[138:139], s[2:3], v[124:125]
	v_fma_f64 v[78:79], v[138:139], s[2:3], v[78:79]
	v_add_f64 v[180:181], v[58:59], v[14:15]
	ds_load_b64 v[134:135], v245
	ds_load_b64 v[198:199], v246
	;; [unrolled: 1-line block ×4, first 2 shown]
	v_fma_f64 v[126:127], v[184:185], s[2:3], v[126:127]
	v_mul_u32_u24_e32 v49, 0x258, v249
	v_lshlrev_b32_e32 v196, 3, v255
	v_fma_f64 v[136:137], v[178:179], s[2:3], v[154:155]
	v_add_f64 v[154:155], v[38:39], v[28:29]
	v_fma_f64 v[116:117], v[178:179], s[2:3], v[116:117]
	v_fma_f64 v[138:139], v[140:141], s[2:3], v[170:171]
	;; [unrolled: 1-line block ×4, first 2 shown]
	v_add_f64 v[142:143], v[42:43], v[36:37]
	v_fma_f64 v[118:119], v[132:133], s[2:3], v[118:119]
	v_add_f64 v[146:147], v[146:147], v[106:107]
	v_fma_f64 v[132:133], v[132:133], s[2:3], v[194:195]
	v_add_f64 v[98:99], v[98:99], v[66:67]
	v_add_f64 v[170:171], v[24:25], v[12:13]
	;; [unrolled: 1-line block ×4, first 2 shown]
	v_add_f64 v[100:101], v[100:101], -v[68:69]
	v_add_f64 v[152:153], v[201:202], v[158:159]
	v_fma_f64 v[184:185], v[251:252], -0.5, v[201:202]
	v_add3_u32 v48, 0, v41, v44
	v_add3_u32 v44, 0, v49, v122
	;; [unrolled: 1-line block ×3, first 2 shown]
	s_waitcnt lgkmcnt(0)
	s_barrier
	buffer_gl0_inv
	ds_store_2addr_b64 v173, v[166:167], v[80:81] offset1:15
	ds_store_2addr_b64 v173, v[88:89], v[70:71] offset0:30 offset1:45
	ds_store_b64 v173, v[74:75] offset:480
	ds_store_2addr_b64 v40, v[148:149], v[90:91] offset1:15
	ds_store_2addr_b64 v40, v[110:111], v[76:77] offset0:30 offset1:45
	ds_store_b64 v40, v[84:85] offset:480
	ds_store_2addr_b64 v45, v[144:145], v[128:129] offset1:15
	ds_store_2addr_b64 v45, v[86:87], v[112:113] offset0:30 offset1:45
	ds_store_b64 v45, v[96:97] offset:480
	ds_store_2addr_b64 v48, v[146:147], v[118:119] offset1:15
	ds_store_2addr_b64 v48, v[104:105], v[82:83] offset0:30 offset1:45
	ds_store_b64 v48, v[132:133] offset:480
	ds_store_2addr_b64 v44, v[94:95], v[124:125] offset1:15
	ds_store_2addr_b64 v44, v[136:137], v[116:117] offset0:30 offset1:45
	ds_store_b64 v44, v[78:79] offset:480
	ds_store_2addr_b64 v41, v[98:99], v[126:127] offset1:15
	ds_store_2addr_b64 v41, v[138:139], v[92:93] offset0:30 offset1:45
	ds_store_b64 v41, v[140:141] offset:480
	v_fma_f64 v[102:103], v[216:217], -0.5, v[102:103]
	v_fma_f64 v[70:71], v[108:109], -0.5, v[201:202]
	v_add_f64 v[74:75], v[134:135], v[38:39]
	v_add_f64 v[76:77], v[160:161], -v[174:175]
	v_add_f64 v[49:50], v[50:51], -v[182:183]
	v_fma_f64 v[80:81], v[154:155], -0.5, v[134:135]
	v_fma_f64 v[78:79], v[142:143], -0.5, v[134:135]
	v_add_f64 v[82:83], v[198:199], v[30:31]
	v_add_f64 v[84:85], v[176:177], -v[106:107]
	v_fma_f64 v[86:87], v[162:163], -0.5, v[198:199]
	v_add_f64 v[16:17], v[20:21], -v[16:17]
	v_fma_f64 v[20:21], v[164:165], -0.5, v[198:199]
	v_add_f64 v[96:97], v[228:229], v[24:25]
	v_fma_f64 v[51:52], v[168:169], -0.5, v[228:229]
	v_add_f64 v[18:19], v[22:23], -v[18:19]
	v_fma_f64 v[22:23], v[170:171], -0.5, v[228:229]
	v_add_f64 v[104:105], v[230:231], v[58:59]
	v_fma_f64 v[66:67], v[178:179], -0.5, v[230:231]
	v_add_f64 v[8:9], v[62:63], -v[8:9]
	v_fma_f64 v[62:63], v[180:181], -0.5, v[230:231]
	v_fma_f64 v[218:219], v[130:131], s[16:17], v[114:115]
	v_fma_f64 v[92:93], v[130:131], s[14:15], v[114:115]
	v_add_f64 v[60:61], v[60:61], v[100:101]
	v_add_f64 v[94:95], v[158:159], -v[46:47]
	v_add_f64 v[98:99], v[34:35], -v[32:33]
	v_add_f64 v[100:101], v[152:153], v[46:47]
	v_add_f64 v[46:47], v[46:47], -v[158:159]
	v_add_f64 v[106:107], v[32:33], -v[34:35]
	v_fma_f64 v[108:109], v[150:151], s[14:15], v[184:185]
	v_add_f64 v[112:113], v[38:39], -v[42:43]
	v_add_f64 v[114:115], v[28:29], -v[36:37]
	;; [unrolled: 1-line block ×9, first 2 shown]
	v_fma_f64 v[88:89], v[207:208], s[14:15], v[102:103]
	v_fma_f64 v[90:91], v[207:208], s[16:17], v[102:103]
	;; [unrolled: 1-line block ×5, first 2 shown]
	v_add_f64 v[74:75], v[74:75], v[42:43]
	v_fma_f64 v[42:43], v[76:77], s[16:17], v[78:79]
	v_fma_f64 v[116:117], v[49:50], s[14:15], v[80:81]
	;; [unrolled: 1-line block ×4, first 2 shown]
	v_add_f64 v[82:83], v[82:83], v[56:57]
	v_fma_f64 v[56:57], v[84:85], s[16:17], v[86:87]
	v_fma_f64 v[128:129], v[16:17], s[14:15], v[20:21]
	;; [unrolled: 1-line block ×4, first 2 shown]
	v_add_f64 v[136:137], v[12:13], -v[2:3]
	v_add_f64 v[96:97], v[96:97], v[64:65]
	v_add_f64 v[24:25], v[64:65], -v[24:25]
	v_fma_f64 v[64:65], v[26:27], s[16:17], v[51:52]
	v_fma_f64 v[51:52], v[26:27], s[14:15], v[51:52]
	;; [unrolled: 1-line block ×4, first 2 shown]
	v_add_f64 v[147:148], v[58:59], -v[72:73]
	v_add_f64 v[152:153], v[14:15], -v[0:1]
	v_add_f64 v[104:105], v[104:105], v[72:73]
	v_fma_f64 v[158:159], v[4:5], s[16:17], v[66:67]
	v_add_f64 v[145:146], v[2:3], -v[12:13]
	v_add_f64 v[58:59], v[72:73], -v[58:59]
	;; [unrolled: 1-line block ×3, first 2 shown]
	v_fma_f64 v[154:155], v[8:9], s[14:15], v[62:63]
	v_fma_f64 v[62:63], v[8:9], s[16:17], v[62:63]
	;; [unrolled: 1-line block ×5, first 2 shown]
	v_add_f64 v[94:95], v[94:95], v[98:99]
	v_add_f64 v[32:33], v[100:101], v[32:33]
	;; [unrolled: 1-line block ×4, first 2 shown]
	v_fma_f64 v[88:89], v[130:131], s[12:13], v[88:89]
	v_fma_f64 v[90:91], v[130:131], s[6:7], v[90:91]
	;; [unrolled: 1-line block ×6, first 2 shown]
	v_add_f64 v[102:103], v[112:113], v[114:115]
	v_fma_f64 v[42:43], v[49:50], s[12:13], v[42:43]
	v_add_f64 v[36:37], v[74:75], v[36:37]
	v_fma_f64 v[74:75], v[76:77], s[12:13], v[116:117]
	v_fma_f64 v[76:77], v[76:77], s[6:7], v[80:81]
	;; [unrolled: 1-line block ×3, first 2 shown]
	v_add_f64 v[78:79], v[124:125], v[126:127]
	v_fma_f64 v[55:56], v[16:17], s[12:13], v[56:57]
	v_add_f64 v[80:81], v[82:83], v[6:7]
	v_add_f64 v[30:31], v[30:31], v[132:133]
	v_fma_f64 v[82:83], v[84:85], s[12:13], v[128:129]
	v_fma_f64 v[20:21], v[84:85], s[6:7], v[20:21]
	;; [unrolled: 1-line block ×3, first 2 shown]
	v_add_f64 v[84:85], v[134:135], v[136:137]
	v_fma_f64 v[64:65], v[18:19], s[12:13], v[64:65]
	v_fma_f64 v[18:19], v[18:19], s[6:7], v[51:52]
	v_add_f64 v[51:52], v[96:97], v[2:3]
	v_fma_f64 v[86:87], v[26:27], s[12:13], v[141:142]
	v_fma_f64 v[22:23], v[26:27], s[6:7], v[22:23]
	v_add_f64 v[26:27], v[147:148], v[152:153]
	v_add_f64 v[96:97], v[104:105], v[0:1]
	v_fma_f64 v[104:105], v[8:9], s[12:13], v[158:159]
	v_add_f64 v[24:25], v[24:25], v[145:146]
	v_add_f64 v[57:58], v[58:59], v[72:73]
	v_fma_f64 v[72:73], v[4:5], s[12:13], v[154:155]
	v_fma_f64 v[62:63], v[4:5], s[6:7], v[62:63]
	;; [unrolled: 1-line block ×3, first 2 shown]
	v_add_f64 v[68:69], v[188:189], v[68:69]
	v_fma_f64 v[186:187], v[209:210], s[2:3], v[218:219]
	v_add_nc_u32_e32 v123, 0x5c00, v223
	v_add_nc_u32_e32 v250, 0x6400, v223
	;; [unrolled: 1-line block ×3, first 2 shown]
	v_fma_f64 v[88:89], v[60:61], s[2:3], v[88:89]
	v_fma_f64 v[59:60], v[60:61], s[2:3], v[90:91]
	;; [unrolled: 1-line block ×3, first 2 shown]
	v_add_f64 v[92:93], v[32:33], v[34:35]
	v_fma_f64 v[98:99], v[94:95], s[2:3], v[98:99]
	v_fma_f64 v[100:101], v[46:47], s[2:3], v[100:101]
	;; [unrolled: 1-line block ×4, first 2 shown]
	v_add_f64 v[36:37], v[36:37], v[28:29]
	v_fma_f64 v[42:43], v[102:103], s[2:3], v[42:43]
	v_fma_f64 v[70:71], v[38:39], s[2:3], v[74:75]
	;; [unrolled: 1-line block ×5, first 2 shown]
	v_add_f64 v[74:75], v[80:81], v[10:11]
	v_add_nc_u32_e32 v149, 0x2400, v223
	v_fma_f64 v[76:77], v[30:31], s[2:3], v[82:83]
	v_fma_f64 v[80:81], v[30:31], s[2:3], v[20:21]
	;; [unrolled: 1-line block ×3, first 2 shown]
	v_add_nc_u32_e32 v196, 0x3c00, v223
	v_fma_f64 v[64:65], v[84:85], s[2:3], v[64:65]
	v_fma_f64 v[84:85], v[84:85], s[2:3], v[18:19]
	v_add_f64 v[51:52], v[51:52], v[12:13]
	v_add_nc_u32_e32 v120, 0x2c00, v223
	v_add_nc_u32_e32 v121, 0x4400, v223
	s_waitcnt lgkmcnt(0)
	v_add_f64 v[94:95], v[96:97], v[14:15]
	v_fma_f64 v[96:97], v[26:27], s[2:3], v[104:105]
	v_fma_f64 v[82:83], v[24:25], s[2:3], v[86:87]
	;; [unrolled: 1-line block ×6, first 2 shown]
	s_barrier
	buffer_gl0_inv
	v_add_nc_u32_e32 v255, 0x6c00, v223
	ds_load_b64 v[139:140], v246
	ds_load_b64 v[143:144], v172
	;; [unrolled: 1-line block ×6, first 2 shown]
	ds_load_2addr_b64 v[128:131], v120 offset0:92 offset1:217
	ds_load_2addr_b64 v[4:7], v193 offset0:86 offset1:211
	;; [unrolled: 1-line block ×12, first 2 shown]
	s_waitcnt lgkmcnt(0)
	s_barrier
	buffer_gl0_inv
	ds_store_2addr_b64 v173, v[68:69], v[186:187] offset1:15
	ds_store_2addr_b64 v173, v[88:89], v[59:60] offset0:30 offset1:45
	ds_store_b64 v173, v[90:91] offset:480
	v_mul_lo_u16 v59, 0xdb, v192
	ds_store_2addr_b64 v40, v[92:93], v[98:99] offset1:15
	ds_store_2addr_b64 v40, v[100:101], v[46:47] offset0:30 offset1:45
	ds_store_b64 v40, v[53:54] offset:480
	v_add_nc_u32_e32 v40, 0xffffffb5, v206
	ds_store_2addr_b64 v45, v[36:37], v[42:43] offset1:15
	ds_store_2addr_b64 v45, v[70:71], v[38:39] offset0:30 offset1:45
	ds_store_b64 v45, v[49:50] offset:480
	v_mov_b32_e32 v136, 0
	v_lshrrev_b16 v155, 14, v59
	ds_store_2addr_b64 v48, v[74:75], v[55:56] offset1:15
	ds_store_2addr_b64 v48, v[76:77], v[80:81] offset0:30 offset1:45
	ds_store_b64 v48, v[78:79] offset:480
	v_cndmask_b32_e64 v251, v40, v206, s0
	v_mul_lo_u16 v36, 0x4b, v155
	ds_store_2addr_b64 v44, v[51:52], v[64:65] offset1:15
	ds_store_2addr_b64 v44, v[82:83], v[86:87] offset0:30 offset1:45
	ds_store_b64 v44, v[84:85] offset:480
	v_mul_i32_i24_e32 v135, 9, v251
	v_sub_nc_u16 v36, v214, v36
	ds_store_2addr_b64 v41, v[94:95], v[96:97] offset1:15
	ds_store_2addr_b64 v41, v[72:73], v[57:58] offset0:30 offset1:45
	ds_store_b64 v41, v[61:62] offset:480
	s_waitcnt lgkmcnt(0)
	s_barrier
	buffer_gl0_inv
	v_and_b32_e32 v249, 0xff, v36
	v_lshlrev_b64 v[36:37], 4, v[135:136]
	s_delay_alu instid0(VALU_DEP_2) | instskip(NEXT) | instid1(VALU_DEP_2)
	v_mul_u32_u24_e32 v38, 9, v249
	v_add_co_u32 v56, s0, s4, v36
	s_delay_alu instid0(VALU_DEP_1) | instskip(SKIP_1) | instid1(VALU_DEP_4)
	v_add_co_ci_u32_e64 v57, s0, s5, v37, s0
	v_mul_u32_u24_e32 v36, 0xb4e9, v191
	v_lshlrev_b32_e32 v58, 4, v38
	s_mov_b32 s0, 0x9b97f4a8
	s_clause 0x2
	global_load_b128 v[132:135], v[56:57], off offset:1200
	global_load_b128 v[158:161], v[56:57], off offset:1232
	;; [unrolled: 1-line block ×3, first 2 shown]
	v_lshrrev_b32_e32 v36, 16, v36
	s_clause 0x2
	global_load_b128 v[150:153], v58, s[4:5] offset:1200
	global_load_b128 v[176:179], v58, s[4:5] offset:1232
	;; [unrolled: 1-line block ×3, first 2 shown]
	s_mov_b32 s1, 0x3fe9e377
	v_sub_nc_u16 v37, v215, v36
	s_delay_alu instid0(VALU_DEP_1) | instskip(NEXT) | instid1(VALU_DEP_1)
	v_lshrrev_b16 v37, 1, v37
	v_add_nc_u16 v36, v37, v36
	s_delay_alu instid0(VALU_DEP_1) | instskip(NEXT) | instid1(VALU_DEP_1)
	v_lshrrev_b16 v252, 6, v36
	v_mul_lo_u16 v36, 0x4b, v252
	s_delay_alu instid0(VALU_DEP_1) | instskip(NEXT) | instid1(VALU_DEP_1)
	v_sub_nc_u16 v36, v215, v36
	v_and_b32_e32 v253, 0xffff, v36
	s_delay_alu instid0(VALU_DEP_1) | instskip(NEXT) | instid1(VALU_DEP_1)
	v_mul_u32_u24_e32 v36, 9, v253
	v_lshlrev_b32_e32 v68, 4, v36
	s_clause 0x14
	global_load_b128 v[207:210], v58, s[4:5] offset:1152
	global_load_b128 v[36:39], v68, s[4:5] offset:1152
	;; [unrolled: 1-line block ×6, first 2 shown]
	global_load_b128 v[112:115], v[56:57], off offset:1168
	global_load_b128 v[108:111], v[56:57], off offset:1184
	;; [unrolled: 1-line block ×3, first 2 shown]
	global_load_b128 v[72:75], v68, s[4:5] offset:1200
	global_load_b128 v[100:103], v[56:57], off offset:1248
	global_load_b128 v[96:99], v[56:57], off offset:1280
	global_load_b128 v[84:87], v58, s[4:5] offset:1216
	global_load_b128 v[92:95], v68, s[4:5] offset:1216
	;; [unrolled: 1-line block ×5, first 2 shown]
	global_load_b128 v[80:83], v[56:57], off offset:1152
	global_load_b128 v[56:59], v58, s[4:5] offset:1280
	global_load_b128 v[60:63], v68, s[4:5] offset:1264
	;; [unrolled: 1-line block ×3, first 2 shown]
	ds_load_2addr_b64 v[180:183], v120 offset0:92 offset1:217
	ds_load_2addr_b64 v[216:219], v121 offset0:74 offset1:199
	;; [unrolled: 1-line block ×4, first 2 shown]
	s_waitcnt vmcnt(26) lgkmcnt(3)
	v_mul_f64 v[162:163], v[180:181], v[134:135]
	v_mul_f64 v[134:135], v[128:129], v[134:135]
	s_waitcnt vmcnt(25) lgkmcnt(2)
	v_mul_f64 v[170:171], v[216:217], v[160:161]
	v_mul_f64 v[173:174], v[124:125], v[160:161]
	s_waitcnt vmcnt(23)
	v_mul_f64 v[164:165], v[182:183], v[152:153]
	v_mul_f64 v[152:153], v[130:131], v[152:153]
	s_waitcnt vmcnt(22)
	v_mul_f64 v[184:185], v[218:219], v[178:179]
	v_mul_f64 v[178:179], v[126:127], v[178:179]
	s_waitcnt lgkmcnt(1)
	v_mul_f64 v[190:191], v[228:229], v[188:189]
	v_mul_f64 v[188:189], v[116:117], v[188:189]
	s_waitcnt vmcnt(21)
	v_mul_f64 v[194:195], v[230:231], v[202:203]
	v_mul_f64 v[198:199], v[118:119], v[202:203]
	s_waitcnt vmcnt(20) lgkmcnt(0)
	v_mul_f64 v[202:203], v[120:121], v[209:210]
	v_mul_f64 v[204:205], v[32:33], v[209:210]
	v_fma_f64 v[168:169], v[128:129], v[132:133], -v[162:163]
	v_fma_f64 v[166:167], v[180:181], v[132:133], v[134:135]
	ds_load_2addr_b64 v[132:135], v227 offset0:107 offset1:232
	v_fma_f64 v[160:161], v[124:125], v[158:159], -v[170:171]
	v_fma_f64 v[164:165], v[130:131], v[150:151], -v[164:165]
	v_fma_f64 v[162:163], v[182:183], v[150:151], v[152:153]
	v_fma_f64 v[158:159], v[216:217], v[158:159], v[173:174]
	s_waitcnt vmcnt(19)
	v_mul_f64 v[180:181], v[122:123], v[38:39]
	ds_load_2addr_b64 v[128:131], v149 offset0:98 offset1:223
	v_fma_f64 v[149:150], v[126:127], v[176:177], -v[184:185]
	v_mul_f64 v[184:185], v[34:35], v[38:39]
	v_fma_f64 v[151:152], v[218:219], v[176:177], v[178:179]
	ds_load_b64 v[170:171], v243
	ds_load_b64 v[172:173], v172
	s_waitcnt vmcnt(18)
	v_mul_f64 v[182:183], v[28:29], v[42:43]
	s_waitcnt vmcnt(17)
	v_mul_f64 v[178:179], v[30:31], v[54:55]
	v_fma_f64 v[153:154], v[116:117], v[186:187], -v[190:191]
	v_fma_f64 v[38:39], v[230:231], v[200:201], v[198:199]
	s_waitcnt lgkmcnt(3)
	v_mul_f64 v[174:175], v[132:133], v[42:43]
	v_mul_f64 v[176:177], v[134:135], v[54:55]
	v_fma_f64 v[54:55], v[228:229], v[186:187], v[188:189]
	s_waitcnt vmcnt(16)
	v_mul_f64 v[188:189], v[24:25], v[46:47]
	v_fma_f64 v[42:43], v[118:119], v[200:201], -v[194:195]
	ds_load_2addr_b64 v[124:127], v193 offset0:86 offset1:211
	ds_load_2addr_b64 v[116:119], v197 offset0:68 offset1:193
	s_waitcnt lgkmcnt(4)
	v_mul_f64 v[186:187], v[128:129], v[46:47]
	s_waitcnt vmcnt(15)
	v_mul_f64 v[190:191], v[130:131], v[50:51]
	v_mul_f64 v[192:193], v[26:27], v[50:51]
	ds_load_b64 v[50:51], v244
	ds_load_b64 v[194:195], v245
	v_fma_f64 v[46:47], v[32:33], v[207:208], -v[202:203]
	v_fma_f64 v[32:33], v[120:121], v[207:208], v[204:205]
	s_waitcnt vmcnt(13) lgkmcnt(4)
	v_mul_f64 v[203:204], v[172:173], v[110:111]
	v_mul_f64 v[110:111], v[143:144], v[110:111]
	ds_load_b64 v[197:198], v223
	ds_load_b64 v[201:202], v246
	v_mul_f64 v[199:200], v[170:171], v[114:115]
	v_mul_f64 v[114:115], v[147:148], v[114:115]
	v_add_f64 v[207:208], v[166:167], -v[158:159]
	v_fma_f64 v[180:181], v[34:35], v[36:37], -v[180:181]
	v_add_f64 v[209:210], v[164:165], v[149:150]
	v_fma_f64 v[184:185], v[122:123], v[36:37], v[184:185]
	ds_load_2addr_b64 v[34:37], v250 offset0:50 offset1:175
	ds_load_2addr_b64 v[120:123], v255 offset0:44 offset1:169
	v_add_f64 v[216:217], v[162:163], v[151:152]
	v_fma_f64 v[174:175], v[28:29], v[40:41], -v[174:175]
	v_fma_f64 v[176:177], v[30:31], v[52:53], -v[176:177]
	ds_load_2addr_b64 v[28:31], v196 offset0:80 offset1:205
	v_fma_f64 v[40:41], v[132:133], v[40:41], v[182:183]
	s_waitcnt vmcnt(12) lgkmcnt(8)
	v_mul_f64 v[132:133], v[126:127], v[106:107]
	v_mul_f64 v[106:107], v[6:7], v[106:107]
	v_fma_f64 v[52:53], v[134:135], v[52:53], v[178:179]
	s_waitcnt vmcnt(10) lgkmcnt(7)
	v_mul_f64 v[178:179], v[118:119], v[102:103]
	v_mul_f64 v[102:103], v[2:3], v[102:103]
	v_fma_f64 v[182:183], v[24:25], v[44:45], -v[186:187]
	v_fma_f64 v[44:45], v[128:129], v[44:45], v[188:189]
	s_waitcnt vmcnt(9) lgkmcnt(2)
	v_mul_f64 v[128:129], v[36:37], v[98:99]
	v_mul_f64 v[98:99], v[10:11], v[98:99]
	v_fma_f64 v[186:187], v[26:27], v[48:49], -v[190:191]
	v_fma_f64 v[48:49], v[130:131], v[48:49], v[192:193]
	v_fma_f64 v[143:144], v[143:144], v[108:109], -v[203:204]
	v_fma_f64 v[108:109], v[172:173], v[108:109], v[110:111]
	s_waitcnt vmcnt(3)
	v_mul_f64 v[172:173], v[201:202], v[82:83]
	ds_load_2addr_b64 v[24:27], v254 offset0:62 offset1:187
	v_fma_f64 v[147:148], v[147:148], v[112:113], -v[199:200]
	v_fma_f64 v[112:113], v[170:171], v[112:113], v[114:115]
	v_mul_f64 v[82:83], v[139:140], v[82:83]
	s_waitcnt lgkmcnt(1)
	v_mul_f64 v[130:131], v[28:29], v[86:87]
	v_mul_f64 v[86:87], v[20:21], v[86:87]
	;; [unrolled: 1-line block ×8, first 2 shown]
	v_add_f64 v[199:200], v[151:152], -v[38:39]
	v_fma_f64 v[209:210], v[209:210], -0.5, v[141:142]
	s_waitcnt vmcnt(0) lgkmcnt(0)
	s_barrier
	buffer_gl0_inv
	v_mul_f64 v[170:171], v[24:25], v[78:79]
	v_mul_f64 v[78:79], v[16:17], v[78:79]
	;; [unrolled: 1-line block ×4, first 2 shown]
	v_fma_f64 v[6:7], v[6:7], v[104:105], -v[132:133]
	v_fma_f64 v[104:105], v[126:127], v[104:105], v[106:107]
	v_mul_f64 v[106:107], v[120:121], v[58:59]
	v_mul_f64 v[126:127], v[34:35], v[62:63]
	v_fma_f64 v[2:3], v[2:3], v[100:101], -v[178:179]
	v_fma_f64 v[100:101], v[118:119], v[100:101], v[102:103]
	v_mul_f64 v[62:63], v[8:9], v[62:63]
	v_mul_f64 v[58:59], v[12:13], v[58:59]
	;; [unrolled: 4-line block ×3, first 2 shown]
	v_add_f64 v[98:99], v[168:169], v[160:161]
	v_add_f64 v[128:129], v[164:165], -v[174:175]
	v_add_f64 v[132:133], v[149:150], -v[42:43]
	v_add_f64 v[102:103], v[147:148], v[153:154]
	v_add_f64 v[190:191], v[141:142], v[174:175]
	;; [unrolled: 1-line block ×3, first 2 shown]
	v_fma_f64 v[20:21], v[20:21], v[84:85], -v[130:131]
	v_fma_f64 v[28:29], v[28:29], v[84:85], v[86:87]
	v_fma_f64 v[84:85], v[139:140], v[80:81], -v[172:173]
	v_fma_f64 v[4:5], v[4:5], v[72:73], -v[134:135]
	v_fma_f64 v[72:73], v[124:125], v[72:73], v[74:75]
	v_fma_f64 v[22:23], v[22:23], v[92:93], -v[188:189]
	v_fma_f64 v[30:31], v[30:31], v[92:93], v[94:95]
	;; [unrolled: 2-line block ×3, first 2 shown]
	v_add_f64 v[90:91], v[145:146], v[147:148]
	v_add_f64 v[114:115], v[197:198], v[112:113]
	v_add_f64 v[124:125], v[174:175], -v[164:165]
	v_add_f64 v[211:212], v[174:175], v[42:43]
	v_add_f64 v[139:140], v[40:41], -v[162:163]
	v_add_f64 v[188:189], v[162:163], -v[40:41]
	;; [unrolled: 1-line block ×3, first 2 shown]
	v_fma_f64 v[16:17], v[16:17], v[76:77], -v[170:171]
	v_fma_f64 v[24:25], v[24:25], v[76:77], v[78:79]
	v_fma_f64 v[76:77], v[201:202], v[80:81], v[82:83]
	v_fma_f64 v[18:19], v[18:19], v[64:65], -v[110:111]
	v_fma_f64 v[26:27], v[26:27], v[64:65], v[66:67]
	v_add_f64 v[64:65], v[168:169], -v[147:148]
	v_fma_f64 v[12:13], v[12:13], v[56:57], -v[106:107]
	v_fma_f64 v[8:9], v[8:9], v[60:61], -v[126:127]
	v_add_f64 v[66:67], v[160:161], -v[153:154]
	v_add_f64 v[78:79], v[166:167], -v[112:113]
	v_fma_f64 v[34:35], v[34:35], v[60:61], v[62:63]
	v_fma_f64 v[56:57], v[120:121], v[56:57], v[58:59]
	v_add_f64 v[60:61], v[147:148], -v[168:169]
	v_add_f64 v[62:63], v[153:154], -v[160:161]
	v_fma_f64 v[14:15], v[14:15], v[68:69], -v[96:97]
	v_add_f64 v[80:81], v[158:159], -v[54:55]
	v_add_f64 v[88:89], v[6:7], -v[143:144]
	;; [unrolled: 1-line block ×5, first 2 shown]
	v_add_f64 v[110:111], v[112:113], v[54:55]
	v_add_f64 v[116:117], v[6:7], v[2:3]
	;; [unrolled: 1-line block ×3, first 2 shown]
	v_fma_f64 v[58:59], v[122:123], v[68:69], v[70:71]
	v_add_f64 v[130:131], v[84:85], v[143:144]
	v_add_f64 v[68:69], v[112:113], -v[166:167]
	v_add_f64 v[70:71], v[54:55], -v[158:159]
	v_add_f64 v[172:173], v[104:105], v[100:101]
	v_add_f64 v[82:83], v[143:144], -v[6:7]
	v_add_f64 v[86:87], v[10:11], -v[2:3]
	;; [unrolled: 3-line block ×3, first 2 shown]
	v_add_f64 v[126:127], v[42:43], -v[149:150]
	v_add_f64 v[178:179], v[108:109], v[36:37]
	v_add_f64 v[112:113], v[112:113], -v[54:55]
	v_add_f64 v[90:91], v[90:91], v[168:169]
	v_fma_f64 v[98:99], v[98:99], -0.5, v[145:146]
	v_add_f64 v[114:115], v[114:115], v[166:167]
	v_add_f64 v[166:167], v[28:29], v[24:25]
	;; [unrolled: 1-line block ×3, first 2 shown]
	v_add_f64 v[108:109], v[108:109], -v[36:37]
	v_add_f64 v[170:171], v[38:39], -v[151:152]
	;; [unrolled: 1-line block ×3, first 2 shown]
	v_fma_f64 v[102:103], v[102:103], -0.5, v[145:146]
	v_add_f64 v[143:144], v[143:144], -v[10:11]
	v_add_f64 v[64:65], v[64:65], v[66:67]
	v_add_f64 v[66:67], v[168:169], -v[160:161]
	v_add_f64 v[168:169], v[20:21], v[16:17]
	v_add_f64 v[201:202], v[182:183], -v[20:21]
	v_add_f64 v[203:204], v[12:13], -v[16:17]
	v_add_f64 v[60:61], v[60:61], v[62:63]
	v_add_f64 v[62:63], v[40:41], v[38:39]
	;; [unrolled: 1-line block ×3, first 2 shown]
	v_add_f64 v[80:81], v[6:7], -v[2:3]
	v_add_f64 v[88:89], v[88:89], v[92:93]
	v_add_f64 v[92:93], v[182:183], v[12:13]
	;; [unrolled: 1-line block ×4, first 2 shown]
	v_fma_f64 v[110:111], v[110:111], -0.5, v[197:198]
	v_fma_f64 v[116:117], v[116:117], -0.5, v[84:85]
	v_fma_f64 v[106:107], v[106:107], -0.5, v[197:198]
	v_add_f64 v[6:7], v[130:131], v[6:7]
	v_add_f64 v[145:146], v[162:163], -v[151:152]
	v_add_f64 v[68:69], v[68:69], v[70:71]
	v_add_f64 v[70:71], v[104:105], -v[100:101]
	v_fma_f64 v[172:173], v[172:173], -0.5, v[76:77]
	v_add_f64 v[82:83], v[82:83], v[86:87]
	v_add_f64 v[86:87], v[164:165], -v[149:150]
	v_add_f64 v[40:41], v[40:41], -v[38:39]
	v_add_f64 v[196:197], v[46:47], v[182:183]
	v_fma_f64 v[84:85], v[118:119], -0.5, v[84:85]
	v_add_f64 v[130:131], v[28:29], -v[24:25]
	v_fma_f64 v[76:77], v[178:179], -0.5, v[76:77]
	v_add_f64 v[164:165], v[190:191], v[164:165]
	v_add_f64 v[190:191], v[32:33], v[44:45]
	;; [unrolled: 1-line block ×3, first 2 shown]
	v_fma_f64 v[141:142], v[211:212], -0.5, v[141:142]
	v_add_f64 v[104:105], v[134:135], v[104:105]
	v_add_f64 v[120:121], v[120:121], v[122:123]
	v_fma_f64 v[122:123], v[216:217], -0.5, v[50:51]
	v_add_f64 v[124:125], v[124:125], v[126:127]
	v_fma_f64 v[166:167], v[166:167], -0.5, v[32:33]
	v_add_f64 v[178:179], v[182:183], -v[12:13]
	v_add_f64 v[90:91], v[90:91], v[160:161]
	v_add_f64 v[114:115], v[114:115], v[158:159]
	v_fma_f64 v[126:127], v[168:169], -0.5, v[46:47]
	v_add_f64 v[118:119], v[44:45], -v[56:57]
	v_add_f64 v[134:135], v[20:21], -v[16:17]
	v_add_f64 v[160:161], v[201:202], v[203:204]
	v_fma_f64 v[50:51], v[62:63], -0.5, v[50:51]
	v_add_f64 v[62:63], v[128:129], v[132:133]
	v_fma_f64 v[132:133], v[112:113], s[14:15], v[98:99]
	v_add_f64 v[128:129], v[139:140], v[170:171]
	v_fma_f64 v[46:47], v[92:93], -0.5, v[46:47]
	v_fma_f64 v[98:99], v[112:113], s[16:17], v[98:99]
	v_fma_f64 v[32:33], v[96:97], -0.5, v[32:33]
	v_fma_f64 v[96:97], v[66:67], s[14:15], v[110:111]
	v_fma_f64 v[110:111], v[66:67], s[16:17], v[110:111]
	;; [unrolled: 1-line block ×3, first 2 shown]
	v_add_f64 v[2:3], v[6:7], v[2:3]
	v_fma_f64 v[6:7], v[108:109], s[14:15], v[116:117]
	v_fma_f64 v[116:117], v[108:109], s[16:17], v[116:117]
	;; [unrolled: 1-line block ×5, first 2 shown]
	v_add_f64 v[92:93], v[188:189], v[199:200]
	v_fma_f64 v[170:171], v[143:144], s[14:15], v[172:173]
	v_add_f64 v[182:183], v[20:21], -v[182:183]
	v_fma_f64 v[168:169], v[70:71], s[16:17], v[84:85]
	v_fma_f64 v[84:85], v[70:71], s[14:15], v[84:85]
	v_add_f64 v[211:212], v[44:45], -v[28:29]
	v_add_f64 v[149:150], v[164:165], v[149:150]
	v_fma_f64 v[164:165], v[40:41], s[16:17], v[209:210]
	v_add_f64 v[151:152], v[162:163], v[151:152]
	v_fma_f64 v[162:163], v[40:41], s[14:15], v[209:210]
	;; [unrolled: 2-line block ×3, first 2 shown]
	v_fma_f64 v[172:173], v[80:81], s[14:15], v[76:77]
	v_fma_f64 v[76:77], v[80:81], s[16:17], v[76:77]
	;; [unrolled: 1-line block ×4, first 2 shown]
	v_add_f64 v[20:21], v[196:197], v[20:21]
	v_add_f64 v[90:91], v[90:91], v[153:154]
	;; [unrolled: 1-line block ×3, first 2 shown]
	v_fma_f64 v[114:115], v[178:179], s[16:17], v[166:167]
	v_fma_f64 v[153:154], v[178:179], s[14:15], v[166:167]
	;; [unrolled: 1-line block ×4, first 2 shown]
	v_add_f64 v[192:193], v[16:17], -v[12:13]
	v_fma_f64 v[132:133], v[207:208], s[6:7], v[132:133]
	v_fma_f64 v[198:199], v[86:87], s[14:15], v[50:51]
	v_fma_f64 v[202:203], v[130:131], s[16:17], v[46:47]
	v_fma_f64 v[46:47], v[130:131], s[14:15], v[46:47]
	v_fma_f64 v[98:99], v[207:208], s[12:13], v[98:99]
	v_fma_f64 v[96:97], v[147:148], s[12:13], v[96:97]
	v_fma_f64 v[110:111], v[147:148], s[6:7], v[110:111]
	v_add_f64 v[147:148], v[22:23], v[18:19]
	v_fma_f64 v[139:140], v[112:113], s[6:7], v[139:140]
	v_fma_f64 v[6:7], v[70:71], s[6:7], v[6:7]
	;; [unrolled: 1-line block ×3, first 2 shown]
	v_add_f64 v[116:117], v[30:31], v[26:27]
	v_fma_f64 v[102:103], v[112:113], s[12:13], v[102:103]
	v_fma_f64 v[112:113], v[66:67], s[12:13], v[158:159]
	;; [unrolled: 1-line block ×3, first 2 shown]
	v_add_f64 v[106:107], v[56:57], -v[24:25]
	v_add_f64 v[158:159], v[190:191], v[28:29]
	v_add_f64 v[2:3], v[2:3], v[10:11]
	;; [unrolled: 1-line block ×4, first 2 shown]
	v_fma_f64 v[50:51], v[86:87], s[16:17], v[50:51]
	v_fma_f64 v[200:201], v[118:119], s[14:15], v[126:127]
	;; [unrolled: 1-line block ×3, first 2 shown]
	v_add_f64 v[28:29], v[28:29], -v[44:45]
	v_add_f64 v[36:37], v[100:101], v[36:37]
	v_fma_f64 v[100:101], v[80:81], s[12:13], v[104:105]
	v_add_f64 v[44:45], v[24:25], -v[56:57]
	v_fma_f64 v[166:167], v[134:135], s[14:15], v[32:33]
	v_fma_f64 v[32:33], v[134:135], s[16:17], v[32:33]
	;; [unrolled: 1-line block ×11, first 2 shown]
	v_add_f64 v[16:17], v[20:21], v[16:17]
	v_fma_f64 v[141:142], v[86:87], s[12:13], v[196:197]
	v_fma_f64 v[164:165], v[118:119], s[6:7], v[202:203]
	v_fma_f64 v[46:47], v[118:119], s[12:13], v[46:47]
	v_fma_f64 v[118:119], v[60:61], s[2:3], v[132:133]
	v_fma_f64 v[60:61], v[60:61], s[2:3], v[98:99]
	v_fma_f64 v[86:87], v[86:87], s[6:7], v[122:123]
	v_fma_f64 v[132:133], v[147:148], -0.5, v[180:181]
	v_add_f64 v[147:148], v[186:187], -v[14:15]
	v_fma_f64 v[98:99], v[64:65], s[2:3], v[139:140]
	v_add_f64 v[139:140], v[30:31], -v[26:27]
	v_fma_f64 v[116:117], v[116:117], -0.5, v[184:185]
	v_fma_f64 v[64:65], v[64:65], s[2:3], v[102:103]
	v_fma_f64 v[102:103], v[68:69], s[2:3], v[112:113]
	;; [unrolled: 1-line block ×3, first 2 shown]
	v_add_f64 v[20:21], v[211:212], v[106:107]
	v_fma_f64 v[106:107], v[134:135], s[12:13], v[114:115]
	v_fma_f64 v[114:115], v[134:135], s[6:7], v[153:154]
	v_add_f64 v[24:25], v[158:159], v[24:25]
	v_fma_f64 v[10:11], v[10:11], -0.5, v[180:181]
	v_add_f64 v[153:154], v[22:23], -v[18:19]
	v_fma_f64 v[158:159], v[190:191], -0.5, v[184:185]
	v_add_f64 v[134:135], v[48:49], -v[58:59]
	v_fma_f64 v[68:69], v[78:79], s[2:3], v[96:97]
	v_fma_f64 v[122:123], v[174:175], s[12:13], v[198:199]
	;; [unrolled: 1-line block ×6, first 2 shown]
	v_add_f64 v[130:131], v[182:183], v[192:193]
	v_add_f64 v[28:29], v[28:29], v[44:45]
	v_fma_f64 v[44:45], v[178:179], s[12:13], v[166:167]
	v_fma_f64 v[32:33], v[178:179], s[6:7], v[32:33]
	;; [unrolled: 1-line block ×9, first 2 shown]
	v_add_f64 v[94:95], v[90:91], v[2:3]
	v_add_f64 v[2:3], v[90:91], -v[2:3]
	v_add_f64 v[90:91], v[54:55], v[36:37]
	v_add_f64 v[54:55], v[54:55], -v[36:37]
	v_add_f64 v[36:37], v[149:150], v[42:43]
	v_fma_f64 v[42:43], v[124:125], s[2:3], v[108:109]
	v_fma_f64 v[100:101], v[124:125], s[2:3], v[143:144]
	;; [unrolled: 1-line block ×4, first 2 shown]
	v_add_f64 v[62:63], v[4:5], v[0:1]
	v_add_f64 v[38:39], v[151:152], v[38:39]
	;; [unrolled: 1-line block ×3, first 2 shown]
	v_add_f64 v[110:111], v[176:177], -v[4:5]
	v_add_f64 v[112:113], v[8:9], -v[0:1]
	;; [unrolled: 1-line block ×6, first 2 shown]
	v_fma_f64 v[168:169], v[147:148], s[16:17], v[116:117]
	v_add_f64 v[166:167], v[30:31], -v[48:49]
	v_add_f64 v[170:171], v[26:27], -v[58:59]
	v_fma_f64 v[172:173], v[153:154], s[14:15], v[158:159]
	v_fma_f64 v[178:179], v[139:140], s[14:15], v[10:11]
	;; [unrolled: 1-line block ×4, first 2 shown]
	v_add_f64 v[124:125], v[72:73], v[74:75]
	v_add_f64 v[141:142], v[186:187], -v[22:23]
	v_add_f64 v[174:175], v[14:15], -v[18:19]
	v_fma_f64 v[182:183], v[134:135], s[14:15], v[132:133]
	v_fma_f64 v[132:133], v[134:135], s[16:17], v[132:133]
	;; [unrolled: 1-line block ×3, first 2 shown]
	v_add_f64 v[188:189], v[52:53], v[34:35]
	v_add_f64 v[12:13], v[16:17], v[12:13]
	v_fma_f64 v[16:17], v[153:154], s[16:17], v[158:159]
	v_fma_f64 v[86:87], v[128:129], s[2:3], v[86:87]
	v_mul_f64 v[128:129], v[96:97], s[6:7]
	v_add_f64 v[24:25], v[24:25], v[56:57]
	v_fma_f64 v[56:57], v[20:21], s[2:3], v[106:107]
	v_fma_f64 v[122:123], v[92:93], s[2:3], v[122:123]
	;; [unrolled: 1-line block ×10, first 2 shown]
	v_fma_f64 v[32:33], v[62:63], -0.5, v[137:138]
	v_add_f64 v[62:63], v[52:53], -v[34:35]
	v_fma_f64 v[106:107], v[108:109], -0.5, v[137:138]
	v_add_f64 v[108:109], v[72:73], -v[74:75]
	v_add_f64 v[110:111], v[110:111], v[112:113]
	v_add_f64 v[112:113], v[137:138], v[176:177]
	;; [unrolled: 1-line block ×5, first 2 shown]
	v_fma_f64 v[145:146], v[153:154], s[12:13], v[168:169]
	v_add_f64 v[48:49], v[184:185], v[48:49]
	v_add_f64 v[149:150], v[166:167], v[170:171]
	v_fma_f64 v[151:152], v[147:148], s[12:13], v[172:173]
	v_fma_f64 v[162:163], v[134:135], s[12:13], v[178:179]
	;; [unrolled: 1-line block ×3, first 2 shown]
	v_add_f64 v[160:161], v[176:177], -v[8:9]
	v_fma_f64 v[114:115], v[124:125], -0.5, v[194:195]
	v_add_f64 v[124:125], v[194:195], v[52:53]
	v_add_f64 v[141:142], v[141:142], v[174:175]
	v_mul_f64 v[166:167], v[84:85], s[2:3]
	v_fma_f64 v[132:133], v[139:140], s[12:13], v[132:133]
	v_fma_f64 v[139:140], v[139:140], s[6:7], v[182:183]
	;; [unrolled: 1-line block ×3, first 2 shown]
	v_add_f64 v[134:135], v[4:5], -v[0:1]
	v_fma_f64 v[164:165], v[188:189], -0.5, v[194:195]
	v_fma_f64 v[16:17], v[147:148], s[6:7], v[16:17]
	v_fma_f64 v[128:129], v[6:7], s[0:1], v[128:129]
	v_mul_f64 v[6:7], v[6:7], s[12:13]
	v_mul_f64 v[174:175], v[56:57], s[6:7]
	v_mul_f64 v[147:148], v[88:89], s[14:15]
	v_mul_f64 v[170:171], v[70:71], s[0:1]
	v_fma_f64 v[92:93], v[153:154], s[6:7], v[92:93]
	v_add_f64 v[176:177], v[4:5], -v[176:177]
	v_mul_f64 v[190:191], v[46:47], s[2:3]
	v_add_f64 v[188:189], v[0:1], -v[8:9]
	v_add_f64 v[192:193], v[34:35], -v[74:75]
	v_mul_f64 v[172:173], v[80:81], s[0:1]
	v_mul_f64 v[168:169], v[76:77], s[2:3]
	;; [unrolled: 1-line block ×3, first 2 shown]
	v_fma_f64 v[184:185], v[62:63], s[14:15], v[32:33]
	v_fma_f64 v[32:33], v[62:63], s[16:17], v[32:33]
	;; [unrolled: 1-line block ×4, first 2 shown]
	v_add_f64 v[4:5], v[112:113], v[4:5]
	v_add_f64 v[112:113], v[52:53], -v[72:73]
	v_add_f64 v[22:23], v[137:138], v[22:23]
	v_mul_f64 v[137:138], v[28:29], s[2:3]
	v_fma_f64 v[145:146], v[143:144], s[2:3], v[145:146]
	v_add_f64 v[52:53], v[72:73], -v[52:53]
	v_add_f64 v[30:31], v[48:49], v[30:31]
	v_fma_f64 v[151:152], v[149:150], s[2:3], v[151:152]
	v_fma_f64 v[162:163], v[130:131], s[2:3], v[162:163]
	v_add_f64 v[48:49], v[74:75], -v[34:35]
	v_mul_f64 v[178:179], v[116:117], s[12:13]
	v_fma_f64 v[194:195], v[160:161], s[16:17], v[114:115]
	v_add_f64 v[124:125], v[124:125], v[72:73]
	v_fma_f64 v[114:115], v[160:161], s[14:15], v[114:115]
	v_mul_f64 v[153:154], v[82:83], s[16:17]
	v_fma_f64 v[72:73], v[141:142], s[2:3], v[132:133]
	v_fma_f64 v[132:133], v[141:142], s[2:3], v[139:140]
	;; [unrolled: 1-line block ×3, first 2 shown]
	v_fma_f64 v[76:77], v[76:77], s[14:15], -v[166:167]
	v_fma_f64 v[139:140], v[134:135], s[14:15], v[164:165]
	v_fma_f64 v[130:131], v[134:135], s[16:17], v[164:165]
	;; [unrolled: 1-line block ×5, first 2 shown]
	v_mul_f64 v[116:117], v[126:127], s[0:1]
	v_fma_f64 v[82:83], v[82:83], s[2:3], v[147:148]
	v_fma_f64 v[92:93], v[143:144], s[2:3], v[92:93]
	v_fma_f64 v[80:81], v[80:81], s[6:7], -v[170:171]
	v_mul_f64 v[182:183], v[158:159], s[16:17]
	v_fma_f64 v[70:71], v[70:71], s[12:13], -v[172:173]
	v_fma_f64 v[84:85], v[84:85], s[16:17], -v[168:169]
	v_fma_f64 v[141:142], v[158:159], s[2:3], v[180:181]
	v_fma_f64 v[143:144], v[108:109], s[6:7], v[184:185]
	;; [unrolled: 1-line block ×5, first 2 shown]
	v_mul_f64 v[106:107], v[20:21], s[0:1]
	v_add_f64 v[0:1], v[4:5], v[0:1]
	v_fma_f64 v[4:5], v[28:29], s[14:15], -v[190:191]
	v_add_f64 v[18:19], v[22:23], v[18:19]
	v_mul_f64 v[28:29], v[145:146], s[6:7]
	v_add_f64 v[108:109], v[176:177], v[188:189]
	v_fma_f64 v[22:23], v[46:47], s[16:17], -v[137:138]
	v_add_f64 v[46:47], v[112:113], v[192:193]
	v_mul_f64 v[112:113], v[151:152], s[14:15]
	v_mul_f64 v[149:150], v[162:163], s[2:3]
	v_add_f64 v[26:27], v[30:31], v[26:27]
	v_fma_f64 v[137:138], v[134:135], s[12:13], v[194:195]
	v_add_f64 v[74:75], v[124:125], v[74:75]
	v_fma_f64 v[114:115], v[134:135], s[6:7], v[114:115]
	v_add_f64 v[30:31], v[52:53], v[48:49]
	v_mul_f64 v[124:125], v[72:73], s[0:1]
	v_fma_f64 v[88:89], v[88:89], s[2:3], v[153:154]
	v_mul_f64 v[134:135], v[10:11], s[16:17]
	v_mul_f64 v[48:49], v[132:133], s[12:13]
	v_fma_f64 v[52:53], v[160:161], s[12:13], v[139:140]
	v_fma_f64 v[130:131], v[160:161], s[6:7], v[130:131]
	v_mul_f64 v[139:140], v[16:17], s[2:3]
	v_add_f64 v[158:159], v[118:119], v[128:129]
	v_add_f64 v[118:119], v[118:119], -v[128:129]
	v_fma_f64 v[20:21], v[20:21], s[6:7], -v[116:117]
	v_add_f64 v[128:129], v[98:99], v[82:83]
	v_mul_f64 v[153:154], v[92:93], s[0:1]
	v_add_f64 v[82:83], v[98:99], -v[82:83]
	v_add_f64 v[98:99], v[64:65], v[76:77]
	v_add_f64 v[64:65], v[64:65], -v[76:77]
	v_add_f64 v[76:77], v[60:61], v[80:81]
	;; [unrolled: 2-line block ×4, first 2 shown]
	v_add_f64 v[166:167], v[66:67], -v[70:71]
	v_fma_f64 v[44:45], v[44:45], s[2:3], v[182:183]
	v_add_f64 v[160:161], v[78:79], v[84:85]
	v_fma_f64 v[6:7], v[126:127], s[12:13], -v[106:107]
	v_add_f64 v[0:1], v[0:1], v[8:9]
	v_fma_f64 v[8:9], v[110:111], s[2:3], v[143:144]
	v_add_f64 v[14:15], v[18:19], v[14:15]
	v_fma_f64 v[28:29], v[132:133], s[0:1], v[28:29]
	v_fma_f64 v[18:19], v[110:111], s[2:3], v[32:33]
	;; [unrolled: 1-line block ×5, first 2 shown]
	v_fma_f64 v[16:17], v[16:17], s[14:15], -v[149:150]
	v_add_f64 v[26:27], v[26:27], v[58:59]
	v_add_f64 v[84:85], v[78:79], -v[84:85]
	v_add_f64 v[34:35], v[74:75], v[34:35]
	v_add_f64 v[74:75], v[36:37], v[12:13]
	v_add_f64 v[12:13], v[36:37], -v[12:13]
	v_fma_f64 v[66:67], v[92:93], s[6:7], -v[124:125]
	v_add_f64 v[36:37], v[42:43], v[96:97]
	v_fma_f64 v[58:59], v[151:152], s[2:3], v[134:135]
	v_add_f64 v[42:43], v[42:43], -v[96:97]
	v_fma_f64 v[52:53], v[30:31], s[2:3], v[52:53]
	v_fma_f64 v[30:31], v[30:31], s[2:3], v[130:131]
	v_fma_f64 v[70:71], v[162:163], s[16:17], -v[139:140]
	v_add_f64 v[78:79], v[104:105], v[141:142]
	v_add_f64 v[96:97], v[40:41], v[4:5]
	v_add_f64 v[4:5], v[40:41], -v[4:5]
	v_add_f64 v[40:41], v[100:101], v[20:21]
	v_add_f64 v[92:93], v[104:105], -v[141:142]
	v_fma_f64 v[56:57], v[56:57], s[0:1], v[178:179]
	v_add_f64 v[116:117], v[68:69], v[88:89]
	v_add_f64 v[88:89], v[68:69], -v[88:89]
	v_fma_f64 v[68:69], v[46:47], s[2:3], v[137:138]
	v_fma_f64 v[46:47], v[46:47], s[2:3], v[114:115]
	;; [unrolled: 1-line block ×3, first 2 shown]
	v_fma_f64 v[72:73], v[72:73], s[12:13], -v[153:154]
	v_add_f64 v[20:21], v[100:101], -v[20:21]
	v_add_f64 v[100:101], v[38:39], v[24:25]
	v_add_f64 v[104:105], v[38:39], -v[24:25]
	v_add_f64 v[110:111], v[50:51], v[22:23]
	v_add_f64 v[112:113], v[86:87], v[6:7]
	v_add_f64 v[86:87], v[86:87], -v[6:7]
	v_add_f64 v[50:51], v[50:51], -v[22:23]
	v_add_f64 v[6:7], v[0:1], v[14:15]
	v_add_f64 v[0:1], v[0:1], -v[14:15]
	v_add_f64 v[14:15], v[8:9], v[28:29]
	v_add_f64 v[8:9], v[8:9], -v[28:29]
	v_cmp_lt_u32_e64 s0, 0x4a, v206
	v_add_f64 v[22:23], v[32:33], v[10:11]
	v_add_f64 v[24:25], v[62:63], v[16:17]
	v_add_f64 v[10:11], v[32:33], -v[10:11]
	v_add_f64 v[16:17], v[62:63], -v[16:17]
	v_add_f64 v[62:63], v[34:35], v[26:27]
	v_add_f64 v[114:115], v[34:35], -v[26:27]
	v_cndmask_b32_e64 v26, 0, 0x1770, s0
	v_add_f64 v[28:29], v[18:19], v[66:67]
	v_add_f64 v[18:19], v[18:19], -v[66:67]
	v_lshlrev_b32_e32 v27, 3, v251
	v_add_f64 v[108:109], v[122:123], v[44:45]
	v_add_f64 v[44:45], v[122:123], -v[44:45]
	v_add_f64 v[122:123], v[52:53], v[58:59]
	v_add_f64 v[52:53], v[52:53], -v[58:59]
	v_add3_u32 v130, 0, v26, v27
	v_and_b32_e32 v26, 0xffff, v155
	v_add_f64 v[58:59], v[30:31], v[70:71]
	v_add_f64 v[124:125], v[30:31], -v[70:71]
	ds_store_2addr_b64 v130, v[94:95], v[158:159] offset1:75
	ds_store_2addr_b64 v130, v[128:129], v[98:99] offset0:150 offset1:225
	v_add_nc_u32_e32 v94, 0x800, v130
	v_and_b32_e32 v30, 0xffff, v252
	v_mul_u32_u24_e32 v26, 0x1770, v26
	v_lshlrev_b32_e32 v27, 3, v249
	v_add_nc_u32_e32 v95, 0xc00, v130
	ds_store_2addr_b64 v94, v[76:77], v[2:3] offset0:44 offset1:119
	v_mul_u32_u24_e32 v2, 0x1770, v30
	v_lshlrev_b32_e32 v3, 3, v253
	v_add_nc_u32_e32 v98, 0x1000, v130
	v_add3_u32 v99, 0, v26, v27
	ds_store_2addr_b64 v95, v[118:119], v[82:83] offset0:66 offset1:141
	ds_store_2addr_b64 v98, v[64:65], v[60:61] offset0:88 offset1:163
	v_add3_u32 v83, 0, v2, v3
	v_add_nc_u32_e32 v60, 0x800, v99
	v_add_nc_u32_e32 v61, 0xc00, v99
	;; [unrolled: 1-line block ×3, first 2 shown]
	ds_store_2addr_b64 v99, v[74:75], v[36:37] offset1:75
	ds_store_2addr_b64 v99, v[78:79], v[96:97] offset0:150 offset1:225
	ds_store_2addr_b64 v60, v[40:41], v[12:13] offset0:44 offset1:119
	;; [unrolled: 1-line block ×4, first 2 shown]
	v_add_nc_u32_e32 v92, 0x800, v83
	v_add_nc_u32_e32 v93, 0xc00, v83
	;; [unrolled: 1-line block ×3, first 2 shown]
	v_add_f64 v[106:107], v[120:121], v[56:57]
	v_add_f64 v[56:57], v[120:121], -v[56:57]
	v_add_f64 v[120:121], v[68:69], v[48:49]
	v_add_f64 v[48:49], v[68:69], -v[48:49]
	;; [unrolled: 2-line block ×3, first 2 shown]
	ds_store_2addr_b64 v83, v[6:7], v[14:15] offset1:75
	ds_store_2addr_b64 v83, v[22:23], v[24:25] offset0:150 offset1:225
	ds_store_2addr_b64 v92, v[28:29], v[0:1] offset0:44 offset1:119
	;; [unrolled: 1-line block ×4, first 2 shown]
	s_waitcnt lgkmcnt(0)
	s_barrier
	buffer_gl0_inv
	ds_load_b64 v[64:65], v223
	ds_load_2addr_b64 v[0:3], v225 offset0:95 offset1:220
	ds_load_2addr_b64 v[4:7], v240 offset0:77 offset1:202
	;; [unrolled: 1-line block ×11, first 2 shown]
	ds_load_b64 v[68:69], v245
	ds_load_b64 v[70:71], v246
	;; [unrolled: 1-line block ×6, first 2 shown]
	ds_load_b64 v[78:79], v223 offset:29000
	s_waitcnt lgkmcnt(0)
	s_barrier
	buffer_gl0_inv
	ds_store_2addr_b64 v130, v[90:91], v[80:81] offset1:75
	ds_store_2addr_b64 v130, v[116:117], v[160:161] offset0:150 offset1:225
	ds_store_2addr_b64 v94, v[164:165], v[54:55] offset0:44 offset1:119
	ds_store_2addr_b64 v95, v[102:103], v[88:89] offset0:66 offset1:141
	ds_store_2addr_b64 v98, v[84:85], v[166:167] offset0:88 offset1:163
	ds_store_2addr_b64 v99, v[100:101], v[106:107] offset1:75
	ds_store_2addr_b64 v99, v[108:109], v[110:111] offset0:150 offset1:225
	ds_store_2addr_b64 v60, v[112:113], v[104:105] offset0:44 offset1:119
	ds_store_2addr_b64 v61, v[56:57], v[44:45] offset0:66 offset1:141
	ds_store_2addr_b64 v82, v[50:51], v[86:87] offset0:88 offset1:163
	;; [unrolled: 5-line block ×3, first 2 shown]
	s_waitcnt lgkmcnt(0)
	s_barrier
	buffer_gl0_inv
	s_and_saveexec_b32 s0, vcc_lo
	s_cbranch_execz .LBB0_15
; %bb.14:
	v_mad_u64_u32 v[218:219], null, s8, v206, 0
	v_lshlrev_b32_e32 v135, 2, v242
	s_delay_alu instid0(VALU_DEP_1) | instskip(SKIP_1) | instid1(VALU_DEP_1)
	v_lshlrev_b64 v[44:45], 4, v[135:136]
	v_lshlrev_b32_e32 v135, 2, v224
	v_lshlrev_b64 v[46:47], 4, v[135:136]
	v_lshlrev_b32_e32 v135, 2, v222
	s_delay_alu instid0(VALU_DEP_1) | instskip(NEXT) | instid1(VALU_DEP_3)
	v_lshlrev_b64 v[48:49], 4, v[135:136]
	v_add_co_u32 v56, vcc_lo, s4, v46
	s_delay_alu instid0(VALU_DEP_4) | instskip(SKIP_1) | instid1(VALU_DEP_4)
	v_add_co_ci_u32_e32 v57, vcc_lo, s5, v47, vcc_lo
	v_lshlrev_b32_e32 v135, 2, v215
	v_add_co_u32 v58, vcc_lo, s4, v48
	v_add_co_ci_u32_e32 v59, vcc_lo, s5, v49, vcc_lo
	v_add_co_u32 v46, vcc_lo, 0x2000, v56
	v_add_co_ci_u32_e32 v47, vcc_lo, 0, v57, vcc_lo
	s_delay_alu instid0(VALU_DEP_4) | instskip(NEXT) | instid1(VALU_DEP_4)
	v_add_co_u32 v48, vcc_lo, 0x2000, v58
	v_add_co_ci_u32_e32 v49, vcc_lo, 0, v59, vcc_lo
	v_add_co_u32 v80, vcc_lo, 0x2eb0, v56
	v_add_co_ci_u32_e32 v81, vcc_lo, 0, v57, vcc_lo
	v_add_co_u32 v106, vcc_lo, 0x2eb0, v58
	v_add_co_ci_u32_e32 v107, vcc_lo, 0, v59, vcc_lo
	v_add_co_u32 v82, vcc_lo, s4, v44
	v_add_co_ci_u32_e32 v83, vcc_lo, s5, v45, vcc_lo
	v_lshlrev_b64 v[102:103], 4, v[135:136]
	s_delay_alu instid0(VALU_DEP_3) | instskip(NEXT) | instid1(VALU_DEP_3)
	v_add_co_u32 v90, vcc_lo, 0x2eb0, v82
	v_add_co_ci_u32_e32 v91, vcc_lo, 0, v83, vcc_lo
	v_add_co_u32 v82, vcc_lo, 0x2000, v82
	v_add_co_ci_u32_e32 v83, vcc_lo, 0, v83, vcc_lo
	v_lshlrev_b32_e32 v135, 2, v214
	v_add_co_u32 v112, vcc_lo, s4, v102
	v_add_co_ci_u32_e32 v113, vcc_lo, s5, v103, vcc_lo
	s_delay_alu instid0(VALU_DEP_3) | instskip(NEXT) | instid1(VALU_DEP_3)
	v_lshlrev_b64 v[110:111], 4, v[135:136]
	v_add_co_u32 v122, vcc_lo, 0x2eb0, v112
	s_delay_alu instid0(VALU_DEP_3)
	v_add_co_ci_u32_e32 v123, vcc_lo, 0, v113, vcc_lo
	v_add_co_u32 v112, vcc_lo, 0x2000, v112
	v_add_co_ci_u32_e32 v113, vcc_lo, 0, v113, vcc_lo
	v_lshlrev_b32_e32 v135, 2, v206
	v_add_co_u32 v126, vcc_lo, s4, v110
	v_add_co_ci_u32_e32 v127, vcc_lo, s5, v111, vcc_lo
	s_clause 0x9
	global_load_b128 v[52:55], v[46:47], off offset:3760
	global_load_b128 v[48:51], v[48:49], off offset:3760
	global_load_b128 v[44:47], v[80:81], off offset:48
	global_load_b128 v[60:63], v[106:107], off offset:48
	global_load_b128 v[56:59], v[90:91], off offset:48
	global_load_b128 v[82:85], v[82:83], off offset:3760
	global_load_b128 v[86:89], v[90:91], off offset:32
	global_load_b128 v[90:93], v[90:91], off offset:16
	global_load_b128 v[94:97], v[80:81], off offset:32
	global_load_b128 v[98:101], v[80:81], off offset:16
	v_lshlrev_b64 v[80:81], 4, v[135:136]
	v_add_co_u32 v138, vcc_lo, 0x2eb0, v126
	v_add_co_ci_u32_e32 v139, vcc_lo, 0, v127, vcc_lo
	v_add_co_u32 v126, vcc_lo, 0x2000, v126
	v_add_co_ci_u32_e32 v127, vcc_lo, 0, v127, vcc_lo
	;; [unrolled: 2-line block ×3, first 2 shown]
	s_clause 0x1
	global_load_b128 v[102:105], v[106:107], off offset:32
	global_load_b128 v[106:109], v[106:107], off offset:16
	v_add_co_u32 v80, vcc_lo, 0x2eb0, v142
	v_add_co_ci_u32_e32 v81, vcc_lo, 0, v143, vcc_lo
	v_add_co_u32 v146, vcc_lo, 0x2000, v142
	v_add_co_ci_u32_e32 v147, vcc_lo, 0, v143, vcc_lo
	s_clause 0xb
	global_load_b128 v[110:113], v[112:113], off offset:3760
	global_load_b128 v[114:117], v[122:123], off offset:48
	;; [unrolled: 1-line block ×12, first 2 shown]
	ds_load_2addr_b64 v[162:165], v238 offset0:101 offset1:226
	ds_load_2addr_b64 v[166:169], v241 offset0:47 offset1:172
	scratch_load_b32 v80, off, off offset:60 ; 4-byte Folded Reload
	s_waitcnt vmcnt(24) lgkmcnt(1)
	v_mul_f64 v[154:155], v[52:53], v[164:165]
	v_mul_f64 v[194:195], v[54:55], v[164:165]
	s_waitcnt vmcnt(23)
	v_mul_f64 v[196:197], v[48:49], v[162:163]
	v_mul_f64 v[198:199], v[50:51], v[162:163]
	s_waitcnt vmcnt(22) lgkmcnt(0)
	v_mul_f64 v[211:212], v[44:45], v[168:169]
	v_mul_f64 v[168:169], v[46:47], v[168:169]
	s_waitcnt vmcnt(21)
	v_mul_f64 v[214:215], v[60:61], v[166:167]
	v_mul_f64 v[166:167], v[62:63], v[166:167]
	s_waitcnt vmcnt(0)
	v_sub_nc_u32_e32 v228, 0, v80
	scratch_load_b32 v80, off, off offset:64 ; 4-byte Folded Reload
	v_fma_f64 v[54:55], v[42:43], v[54:55], v[154:155]
	v_fma_f64 v[42:43], v[42:43], v[52:53], -v[194:195]
	v_add_nc_u32_e32 v194, v221, v228
	v_fma_f64 v[50:51], v[40:41], v[50:51], v[196:197]
	v_fma_f64 v[40:41], v[40:41], v[48:49], -v[198:199]
	v_fma_f64 v[46:47], v[38:39], v[46:47], v[211:212]
	v_fma_f64 v[38:39], v[38:39], v[44:45], -v[168:169]
	v_fma_f64 v[62:63], v[36:37], v[62:63], v[214:215]
	v_fma_f64 v[36:37], v[36:37], v[60:61], -v[166:167]
	s_waitcnt vmcnt(0)
	v_sub_nc_u32_e32 v229, 0, v80
	scratch_load_b32 v80, off, off offset:68 ; 4-byte Folded Reload
	v_add_nc_u32_e32 v228, v156, v229
	v_mov_b32_e32 v156, v219
	s_waitcnt vmcnt(0)
	v_sub_nc_u32_e32 v230, 0, v80
	scratch_load_b32 v80, off, off offset:72 ; 4-byte Folded Reload
	s_waitcnt vmcnt(0)
	v_sub_nc_u32_e32 v231, 0, v80
	scratch_load_b32 v80, off, off offset:76 ; 4-byte Folded Reload
	v_add_nc_u32_e32 v221, v226, v231
	v_add_nc_u32_e32 v226, v157, v230
	s_waitcnt vmcnt(0)
	v_sub_nc_u32_e32 v238, 0, v80
	scratch_load_b32 v80, off, off offset:80 ; 4-byte Folded Reload
	ds_load_2addr_b64 v[162:165], v240 offset0:77 offset1:202
	ds_load_b64 v[204:205], v223 offset:29000
	ds_load_2addr_b64 v[170:173], v225 offset0:95 offset1:220
	ds_load_2addr_b64 v[174:177], v235 offset0:59 offset1:184
	;; [unrolled: 1-line block ×8, first 2 shown]
	ds_load_b64 v[216:217], v223
	ds_load_b64 v[194:195], v194
	v_add_nc_u32_e32 v233, 0x5dc, v206
	v_add_nc_u32_e32 v227, v234, v238
	v_mad_u64_u32 v[224:225], null, s8, v213, 0
	s_waitcnt lgkmcnt(11)
	v_mul_f64 v[48:49], v[90:91], v[162:163]
	s_waitcnt lgkmcnt(10)
	v_mul_f64 v[222:223], v[56:57], v[204:205]
	v_mul_f64 v[204:205], v[58:59], v[204:205]
	s_waitcnt lgkmcnt(9)
	v_mul_f64 v[52:53], v[82:83], v[170:171]
	v_mul_f64 v[154:155], v[84:85], v[170:171]
	;; [unrolled: 1-line block ×3, first 2 shown]
	s_waitcnt lgkmcnt(8)
	v_mul_f64 v[196:197], v[86:87], v[174:175]
	v_mul_f64 v[174:175], v[88:89], v[174:175]
	s_waitcnt lgkmcnt(7)
	v_mul_f64 v[44:45], v[98:99], v[180:181]
	v_mul_f64 v[168:169], v[100:101], v[180:181]
	;; [unrolled: 3-line block ×3, first 2 shown]
	v_mul_f64 v[180:181], v[106:107], v[178:179]
	v_mul_f64 v[184:185], v[102:103], v[182:183]
	;; [unrolled: 1-line block ×4, first 2 shown]
	s_waitcnt lgkmcnt(5)
	v_mul_f64 v[198:199], v[122:123], v[188:189]
	s_waitcnt lgkmcnt(4)
	v_mul_f64 v[211:212], v[110:111], v[192:193]
	v_mul_f64 v[192:193], v[112:113], v[192:193]
	v_mad_u64_u32 v[170:171], null, s8, v233, 0
	v_fma_f64 v[48:49], v[4:5], v[92:93], v[48:49]
	v_fma_f64 v[58:59], v[78:79], v[58:59], v[222:223]
	v_fma_f64 v[56:57], v[78:79], v[56:57], -v[204:205]
	s_waitcnt lgkmcnt(3)
	v_mul_f64 v[78:79], v[118:119], v[202:203]
	s_waitcnt lgkmcnt(2)
	v_mul_f64 v[204:205], v[114:115], v[209:210]
	v_fma_f64 v[52:53], v[0:1], v[84:85], v[52:53]
	v_fma_f64 v[0:1], v[0:1], v[82:83], -v[154:155]
	v_mul_f64 v[82:83], v[116:117], v[209:210]
	v_mul_f64 v[84:85], v[124:125], v[188:189]
	v_fma_f64 v[4:5], v[4:5], v[90:91], -v[162:163]
	v_mul_f64 v[90:91], v[120:121], v[202:203]
	v_mul_f64 v[92:93], v[126:127], v[190:191]
	;; [unrolled: 1-line block ×9, first 2 shown]
	v_mad_u64_u32 v[209:210], null, s9, v206, v[156:157]
	v_fma_f64 v[88:89], v[8:9], v[88:89], v[196:197]
	v_fma_f64 v[8:9], v[8:9], v[86:87], -v[174:175]
	v_mul_f64 v[86:87], v[142:143], v[172:173]
	s_waitcnt lgkmcnt(0)
	v_mul_f64 v[156:157], v[146:147], v[194:195]
	v_fma_f64 v[44:45], v[30:31], v[100:101], v[44:45]
	v_fma_f64 v[30:31], v[30:31], v[98:99], -v[168:169]
	v_mul_f64 v[100:101], v[158:159], v[176:177]
	v_mul_f64 v[168:169], v[160:161], v[176:177]
	v_mul_f64 v[175:176], v[148:149], v[194:195]
	v_mul_f64 v[172:173], v[144:145], v[172:173]
	v_fma_f64 v[60:61], v[34:35], v[96:97], v[60:61]
	v_fma_f64 v[34:35], v[34:35], v[94:95], -v[166:167]
	v_fma_f64 v[94:95], v[28:29], v[108:109], v[180:181]
	v_fma_f64 v[96:97], v[32:33], v[104:105], v[184:185]
	v_fma_f64 v[28:29], v[28:29], v[106:107], -v[178:179]
	v_fma_f64 v[32:33], v[32:33], v[102:103], -v[182:183]
	v_fma_f64 v[102:103], v[14:15], v[124:125], v[198:199]
	v_mul_f64 v[98:99], v[150:151], v[164:165]
	v_mul_f64 v[164:165], v[152:153], v[164:165]
	v_fma_f64 v[104:105], v[22:23], v[112:113], v[211:212]
	v_fma_f64 v[78:79], v[18:19], v[120:121], v[78:79]
	;; [unrolled: 1-line block ×3, first 2 shown]
	v_fma_f64 v[22:23], v[22:23], v[110:111], -v[192:193]
	v_add_f64 v[110:111], v[48:49], -v[52:53]
	v_fma_f64 v[26:27], v[26:27], v[114:115], -v[82:83]
	v_fma_f64 v[14:15], v[14:15], v[122:123], -v[84:85]
	v_add_f64 v[114:115], v[52:53], v[58:59]
	v_fma_f64 v[18:19], v[18:19], v[118:119], -v[90:91]
	v_fma_f64 v[84:85], v[20:21], v[128:129], v[92:93]
	v_fma_f64 v[20:21], v[20:21], v[126:127], -v[154:155]
	v_fma_f64 v[92:93], v[24:25], v[132:133], v[162:163]
	;; [unrolled: 2-line block ×4, first 2 shown]
	v_fma_f64 v[16:17], v[16:17], v[134:135], -v[200:201]
	v_add_f64 v[118:119], v[52:53], -v[48:49]
	v_add_f64 v[126:127], v[4:5], -v[0:1]
	v_add_f64 v[112:113], v[88:89], -v[58:59]
	v_add_f64 v[120:121], v[58:59], -v[88:89]
	v_fma_f64 v[86:87], v[2:3], v[144:145], v[86:87]
	v_fma_f64 v[108:109], v[76:77], v[148:149], v[156:157]
	v_add_f64 v[122:123], v[48:49], v[88:89]
	v_add_f64 v[128:129], v[8:9], -v[56:57]
	v_fma_f64 v[100:101], v[10:11], v[160:161], v[100:101]
	v_fma_f64 v[10:11], v[10:11], v[158:159], -v[168:169]
	v_fma_f64 v[76:77], v[76:77], v[146:147], -v[175:176]
	;; [unrolled: 1-line block ×3, first 2 shown]
	v_add_f64 v[130:131], v[0:1], v[56:57]
	v_add_f64 v[132:133], v[0:1], -v[4:5]
	v_add_f64 v[168:169], v[94:95], -v[50:51]
	;; [unrolled: 1-line block ×6, first 2 shown]
	v_fma_f64 v[98:99], v[6:7], v[152:153], v[98:99]
	v_fma_f64 v[6:7], v[6:7], v[150:151], -v[164:165]
	v_add_f64 v[136:137], v[4:5], v[8:9]
	v_add_f64 v[138:139], v[74:75], v[0:1]
	v_add_f64 v[140:141], v[44:45], -v[54:55]
	v_add_f64 v[142:143], v[60:61], -v[46:47]
	v_add_f64 v[144:145], v[54:55], v[46:47]
	v_add_f64 v[146:147], v[54:55], -v[44:45]
	v_add_f64 v[148:149], v[46:47], -v[60:61]
	v_add_f64 v[150:151], v[44:45], v[60:61]
	v_add_f64 v[154:155], v[30:31], -v[42:43]
	v_add_f64 v[156:157], v[34:35], -v[38:39]
	v_add_f64 v[158:159], v[42:43], v[38:39]
	v_add_f64 v[160:161], v[42:43], -v[30:31]
	v_add_f64 v[162:163], v[38:39], -v[34:35]
	v_add_f64 v[164:165], v[30:31], v[34:35]
	v_add_f64 v[182:183], v[28:29], -v[40:41]
	v_add_f64 v[184:185], v[32:33], -v[36:37]
	v_add_f64 v[188:189], v[40:41], -v[28:29]
	v_add_f64 v[190:191], v[36:37], -v[32:33]
	;; [unrolled: 1-line block ×4, first 2 shown]
	v_add_f64 v[166:167], v[72:73], v[42:43]
	v_mov_b32_e32 v174, v225
	v_dual_mov_b32 v219, v209 :: v_dual_add_nc_u32 v244, 0x8ca, v206
	v_add_f64 v[116:117], v[4:5], -v[8:9]
	v_add_f64 v[180:181], v[94:95], v[96:97]
	v_add_f64 v[186:187], v[40:41], v[36:37]
	;; [unrolled: 1-line block ×4, first 2 shown]
	v_add_f64 v[204:205], v[104:105], -v[102:103]
	v_add_f64 v[211:212], v[106:107], -v[78:79]
	v_add_f64 v[229:230], v[18:19], -v[26:27]
	v_add_f64 v[168:169], v[168:169], v[172:173]
	v_add_f64 v[172:173], v[20:21], -v[12:13]
	v_add_f64 v[176:177], v[176:177], v[178:179]
	v_add_f64 v[178:179], v[24:25], -v[16:17]
	v_add_f64 v[110:111], v[110:111], v[112:113]
	v_add_f64 v[112:113], v[22:23], v[26:27]
	;; [unrolled: 1-line block ×3, first 2 shown]
	v_add_f64 v[120:121], v[22:23], -v[14:15]
	v_add_f64 v[126:127], v[126:127], v[128:129]
	v_add_f64 v[128:129], v[14:15], v[18:19]
	v_add_f64 v[132:133], v[132:133], v[134:135]
	v_add_f64 v[134:135], v[82:83], -v[84:85]
	v_fma_f64 v[130:131], v[130:131], -0.5, v[74:75]
	v_fma_f64 v[74:75], v[136:137], -0.5, v[74:75]
	v_add_f64 v[136:137], v[90:91], -v[92:93]
	v_add_f64 v[4:5], v[4:5], v[138:139]
	v_add_f64 v[138:139], v[84:85], v[92:93]
	;; [unrolled: 1-line block ×3, first 2 shown]
	v_add_f64 v[142:143], v[84:85], -v[82:83]
	v_add_f64 v[146:147], v[146:147], v[148:149]
	v_add_f64 v[148:149], v[92:93], -v[90:91]
	v_add_f64 v[154:155], v[154:155], v[156:157]
	;; [unrolled: 2-line block ×3, first 2 shown]
	v_add_f64 v[162:163], v[16:17], -v[24:25]
	v_fma_f64 v[158:159], v[158:159], -0.5, v[72:73]
	v_fma_f64 v[72:73], v[164:165], -0.5, v[72:73]
	v_add_f64 v[164:165], v[20:21], v[24:25]
	v_add_f64 v[182:183], v[182:183], v[184:185]
	;; [unrolled: 1-line block ×4, first 2 shown]
	v_add_f64 v[190:191], v[86:87], -v[108:109]
	v_add_f64 v[198:199], v[198:199], v[200:201]
	v_add_f64 v[200:201], v[98:99], -v[100:101]
	v_add_f64 v[166:167], v[30:31], v[166:167]
	v_fma_f64 v[186:187], v[186:187], -0.5, v[70:71]
	v_fma_f64 v[192:193], v[192:193], -0.5, v[70:71]
	v_add_f64 v[70:71], v[70:71], v[40:41]
	v_add_f64 v[204:205], v[204:205], v[211:212]
	v_add_f64 v[42:43], v[42:43], -v[38:39]
	v_add_f64 v[30:31], v[30:31], -v[34:35]
	v_add_f64 v[172:173], v[172:173], v[178:179]
	v_add_f64 v[178:179], v[2:3], -v[76:77]
	v_fma_f64 v[112:113], v[112:113], -0.5, v[68:69]
	v_add_f64 v[40:41], v[40:41], -v[36:37]
	v_add_f64 v[234:235], v[22:23], -v[26:27]
	;; [unrolled: 1-line block ×3, first 2 shown]
	v_mad_u64_u32 v[207:208], null, s8, v244, 0
	v_lshlrev_b64 v[218:219], 4, v[218:219]
	v_add_f64 v[134:135], v[134:135], v[136:137]
	v_add_f64 v[136:137], v[108:109], -v[86:87]
	v_add_f64 v[4:5], v[4:5], v[8:9]
	v_add_f64 v[8:9], v[10:11], -v[6:7]
	;; [unrolled: 2-line block ×3, first 2 shown]
	v_add_f64 v[156:157], v[156:157], v[162:163]
	v_add_f64 v[162:163], v[108:109], v[216:217]
	v_fma_f64 v[164:165], v[164:165], -0.5, v[66:67]
	v_add_f64 v[190:191], v[190:191], v[200:201]
	v_add_f64 v[200:201], v[76:77], v[10:11]
	;; [unrolled: 1-line block ×5, first 2 shown]
	v_add_f64 v[28:29], v[28:29], -v[32:33]
	v_mad_u64_u32 v[231:232], null, s9, v233, v[171:172]
	v_add_f64 v[232:233], v[0:1], -v[56:57]
	s_delay_alu instid0(VALU_DEP_2)
	v_mov_b32_e32 v171, v231
	v_add_f64 v[0:1], v[4:5], v[56:57]
	v_add_f64 v[136:137], v[136:137], v[148:149]
	v_add_f64 v[148:149], v[2:3], -v[6:7]
	v_add_f64 v[32:33], v[70:71], v[32:33]
	s_waitcnt vmcnt(0)
	v_sub_nc_u32_e32 v241, 0, v80
	scratch_load_b64 v[80:81], off, off     ; 8-byte Folded Reload
	v_add_nc_u32_e32 v220, v220, v241
	ds_load_b64 v[194:195], v220
	ds_load_b64 v[196:197], v227
	ds_load_b64 v[209:210], v221
	ds_load_b64 v[214:215], v226
	v_mad_u64_u32 v[220:221], null, s9, v213, v[174:175]
	ds_load_b64 v[221:222], v228
	v_add_f64 v[174:175], v[50:51], v[62:63]
	v_add_f64 v[225:226], v[102:103], v[78:79]
	v_add_f64 v[227:228], v[14:15], -v[22:23]
	s_waitcnt lgkmcnt(4)
	v_add_f64 v[124:125], v[52:53], v[194:195]
	s_waitcnt lgkmcnt(3)
	v_add_f64 v[152:153], v[54:55], v[196:197]
	v_fma_f64 v[114:115], v[114:115], -0.5, v[194:195]
	v_fma_f64 v[122:123], v[122:123], -0.5, v[194:195]
	v_add_f64 v[194:195], v[26:27], -v[18:19]
	v_fma_f64 v[144:145], v[144:145], -0.5, v[196:197]
	v_fma_f64 v[150:151], v[150:151], -0.5, v[196:197]
	v_add_f64 v[196:197], v[82:83], v[90:91]
	s_waitcnt lgkmcnt(2)
	v_fma_f64 v[180:181], v[180:181], -0.5, v[209:210]
	s_waitcnt lgkmcnt(1)
	v_add_f64 v[211:212], v[104:105], v[214:215]
	v_fma_f64 v[202:203], v[202:203], -0.5, v[214:215]
	s_waitcnt lgkmcnt(0)
	v_fma_f64 v[138:139], v[138:139], -0.5, v[221:222]
	v_add_f64 v[54:55], v[54:55], -v[46:47]
	v_add_f64 v[104:105], v[104:105], -v[106:107]
	;; [unrolled: 1-line block ×3, first 2 shown]
	v_fma_f64 v[174:175], v[174:175], -0.5, v[209:210]
	v_add_f64 v[209:210], v[50:51], v[209:210]
	v_fma_f64 v[213:214], v[225:226], -0.5, v[214:215]
	v_add_f64 v[225:226], v[68:69], v[22:23]
	v_add_f64 v[227:228], v[227:228], v[229:230]
	;; [unrolled: 1-line block ×3, first 2 shown]
	v_fma_f64 v[68:69], v[128:129], -0.5, v[68:69]
	v_add_f64 v[128:129], v[108:109], v[100:101]
	v_add_f64 v[50:51], v[50:51], -v[62:63]
	v_add_f64 v[108:109], v[108:109], -v[100:101]
	;; [unrolled: 1-line block ×3, first 2 shown]
	v_add_f64 v[124:125], v[48:49], v[124:125]
	v_add_f64 v[152:153], v[44:45], v[152:153]
	v_add_f64 v[48:49], v[48:49], -v[88:89]
	v_add_f64 v[44:45], v[44:45], -v[60:61]
	v_add_f64 v[120:121], v[120:121], v[194:195]
	v_add_f64 v[194:195], v[66:67], v[20:21]
	v_fma_f64 v[66:67], v[184:185], -0.5, v[66:67]
	v_fma_f64 v[196:197], v[196:197], -0.5, v[221:222]
	v_add_f64 v[221:222], v[86:87], v[98:99]
	v_add_f64 v[184:185], v[6:7], -v[10:11]
	v_add_f64 v[211:212], v[102:103], v[211:212]
	v_add_f64 v[102:103], v[102:103], -v[78:79]
	v_fma_f64 v[4:5], v[42:43], s[14:15], v[150:151]
	v_fma_f64 v[56:57], v[42:43], s[16:17], v[150:151]
	;; [unrolled: 1-line block ×4, first 2 shown]
	v_add_f64 v[20:21], v[34:35], v[38:39]
	v_fma_f64 v[34:35], v[54:55], s[16:17], v[72:73]
	v_fma_f64 v[38:39], v[54:55], s[14:15], v[72:73]
	;; [unrolled: 1-line block ×3, first 2 shown]
	v_add_f64 v[209:210], v[94:95], v[209:210]
	v_add_f64 v[94:95], v[94:95], -v[96:97]
	v_add_f64 v[225:226], v[14:15], v[225:226]
	v_add_f64 v[14:15], v[14:15], -v[18:19]
	;; [unrolled: 2-line block ×3, first 2 shown]
	v_fma_f64 v[128:129], v[128:129], -0.5, v[216:217]
	v_add_f64 v[88:89], v[88:89], v[124:125]
	v_add_f64 v[124:125], v[76:77], -v[2:3]
	v_add_f64 v[60:61], v[60:61], v[152:153]
	v_add_f64 v[152:153], v[2:3], v[6:7]
	v_add_f64 v[76:77], v[76:77], -v[10:11]
	v_add_f64 v[194:195], v[12:13], v[194:195]
	v_add_f64 v[12:13], v[12:13], -v[16:17]
	v_fma_f64 v[215:216], v[221:222], -0.5, v[216:217]
	v_add_f64 v[221:222], v[86:87], -v[98:99]
	v_add_f64 v[86:87], v[86:87], v[162:163]
	v_add_f64 v[162:163], v[178:179], v[184:185]
	v_fma_f64 v[178:179], v[200:201], -0.5, v[64:65]
	v_fma_f64 v[184:185], v[48:49], s[14:15], v[130:131]
	v_fma_f64 v[130:131], v[48:49], s[16:17], v[130:131]
	v_add_f64 v[78:79], v[78:79], v[211:212]
	v_fma_f64 v[211:212], v[236:237], s[14:15], v[196:197]
	v_fma_f64 v[56:57], v[30:31], s[12:13], v[56:57]
	;; [unrolled: 1-line block ×8, first 2 shown]
	v_add_f64 v[72:73], v[96:97], v[209:210]
	v_fma_f64 v[96:97], v[40:41], s[14:15], v[180:181]
	v_fma_f64 v[70:71], v[94:95], s[14:15], v[186:187]
	;; [unrolled: 1-line block ×3, first 2 shown]
	v_add_f64 v[90:91], v[90:91], v[229:230]
	v_fma_f64 v[209:210], v[234:235], s[16:17], v[213:214]
	v_add_f64 v[18:19], v[225:226], v[18:19]
	v_fma_f64 v[225:226], v[42:43], s[6:7], v[238:239]
	v_fma_f64 v[238:239], v[44:45], s[12:13], v[34:35]
	v_add_f64 v[124:125], v[124:125], v[8:9]
	v_add_f64 v[22:23], v[46:47], v[60:61]
	v_fma_f64 v[8:9], v[152:153], -0.5, v[64:65]
	v_fma_f64 v[152:153], v[116:117], s[16:17], v[114:115]
	v_fma_f64 v[114:115], v[116:117], s[14:15], v[114:115]
	v_add_f64 v[64:65], v[2:3], v[166:167]
	v_fma_f64 v[166:167], v[232:233], s[14:15], v[122:123]
	v_fma_f64 v[122:123], v[232:233], s[16:17], v[122:123]
	v_add_f64 v[2:3], v[58:59], v[88:89]
	v_fma_f64 v[58:59], v[44:45], s[14:15], v[158:159]
	v_fma_f64 v[88:89], v[44:45], s[16:17], v[158:159]
	;; [unrolled: 1-line block ×9, first 2 shown]
	v_add_f64 v[16:17], v[194:195], v[16:17]
	v_fma_f64 v[194:195], v[102:103], s[14:15], v[112:113]
	v_add_f64 v[86:87], v[98:99], v[86:87]
	v_fma_f64 v[98:99], v[104:105], s[16:17], v[68:69]
	v_fma_f64 v[68:69], v[104:105], s[14:15], v[68:69]
	;; [unrolled: 1-line block ×11, first 2 shown]
	v_add_f64 v[42:43], v[62:63], v[72:73]
	v_fma_f64 v[72:73], v[50:51], s[12:13], v[70:71]
	v_add_f64 v[44:45], v[18:19], v[26:27]
	v_fma_f64 v[196:197], v[12:13], s[12:13], v[196:197]
	v_fma_f64 v[38:39], v[146:147], s[2:3], v[56:57]
	v_fma_f64 v[200:201], v[48:49], s[12:13], v[200:201]
	v_fma_f64 v[74:75], v[48:49], s[6:7], v[74:75]
	v_fma_f64 v[96:97], v[28:29], s[6:7], v[96:97]
	v_fma_f64 v[70:71], v[176:177], s[2:3], v[150:151]
	v_fma_f64 v[152:153], v[232:233], s[6:7], v[152:153]
	v_fma_f64 v[114:115], v[232:233], s[12:13], v[114:115]
	v_fma_f64 v[232:233], v[30:31], s[6:7], v[4:5]
	v_fma_f64 v[4:5], v[221:222], s[14:15], v[178:179]
	v_fma_f64 v[30:31], v[221:222], s[16:17], v[178:179]
	v_fma_f64 v[178:179], v[108:109], s[16:17], v[8:9]
	v_fma_f64 v[8:9], v[108:109], s[14:15], v[8:9]
	v_add_f64 v[6:7], v[64:65], v[6:7]
	v_fma_f64 v[64:65], v[12:13], s[16:17], v[138:139]
	v_fma_f64 v[166:167], v[116:117], s[6:7], v[166:167]
	;; [unrolled: 1-line block ×6, first 2 shown]
	v_add_f64 v[46:47], v[106:107], v[78:79]
	v_fma_f64 v[158:159], v[50:51], s[6:7], v[158:159]
	v_fma_f64 v[106:107], v[104:105], s[12:13], v[194:195]
	;; [unrolled: 1-line block ×12, first 2 shown]
	v_add_f64 v[50:51], v[92:93], v[90:91]
	v_fma_f64 v[58:59], v[54:55], s[12:13], v[58:59]
	v_fma_f64 v[88:89], v[54:55], s[6:7], v[88:89]
	v_add_f64 v[54:55], v[100:101], v[86:87]
	v_fma_f64 v[180:181], v[234:235], s[6:7], v[186:187]
	v_fma_f64 v[186:187], v[234:235], s[12:13], v[192:193]
	;; [unrolled: 1-line block ×7, first 2 shown]
	v_add_nc_u32_e32 v130, 0xbb8, v206
	v_fma_f64 v[14:15], v[110:111], s[2:3], v[114:115]
	v_add_nc_u32_e32 v131, 0x7d, v206
	v_fma_f64 v[215:216], v[108:109], s[12:13], v[4:5]
	v_fma_f64 v[229:230], v[108:109], s[6:7], v[30:31]
	;; [unrolled: 1-line block ×6, first 2 shown]
	v_mov_b32_e32 v225, v220
	v_fma_f64 v[18:19], v[118:119], s[2:3], v[116:117]
	v_fma_f64 v[90:91], v[84:85], s[12:13], v[122:123]
	;; [unrolled: 1-line block ×4, first 2 shown]
	v_add_f64 v[52:53], v[6:7], v[10:11]
	v_fma_f64 v[6:7], v[118:119], s[2:3], v[166:167]
	v_fma_f64 v[10:11], v[110:111], s[2:3], v[152:153]
	;; [unrolled: 1-line block ×13, first 2 shown]
	v_add_f64 v[48:49], v[16:17], v[24:25]
	v_fma_f64 v[66:67], v[176:177], s[2:3], v[96:97]
	v_fma_f64 v[100:101], v[142:143], s[2:3], v[194:195]
	;; [unrolled: 1-line block ×3, first 2 shown]
	v_add_f64 v[40:41], v[32:33], v[36:37]
	v_fma_f64 v[32:33], v[154:155], s[2:3], v[88:89]
	v_fma_f64 v[88:89], v[204:205], s[2:3], v[202:203]
	;; [unrolled: 1-line block ×12, first 2 shown]
	v_mov_b32_e32 v124, v208
	v_fma_f64 v[92:93], v[134:135], s[2:3], v[112:113]
	v_fma_f64 v[112:113], v[190:191], s[2:3], v[128:129]
	;; [unrolled: 1-line block ×16, first 2 shown]
	s_waitcnt vmcnt(0)
	v_add_co_u32 v80, vcc_lo, s10, v80
	v_add_co_ci_u32_e32 v81, vcc_lo, s11, v81, vcc_lo
	s_delay_alu instid0(VALU_DEP_2) | instskip(NEXT) | instid1(VALU_DEP_2)
	v_add_co_u32 v122, vcc_lo, v80, v218
	v_add_co_ci_u32_e32 v123, vcc_lo, v81, v219, vcc_lo
	global_store_b128 v[122:123], v[52:55], off
	v_mad_u64_u32 v[122:123], null, s9, v244, v[124:125]
	v_mad_u64_u32 v[123:124], null, s8, v130, 0
	;; [unrolled: 1-line block ×3, first 2 shown]
	v_lshlrev_b64 v[52:53], 4, v[224:225]
	v_lshlrev_b64 v[54:55], 4, v[170:171]
	v_mov_b32_e32 v208, v122
	v_mov_b32_e32 v122, v124
	s_delay_alu instid0(VALU_DEP_4) | instskip(SKIP_1) | instid1(VALU_DEP_3)
	v_add_co_u32 v52, vcc_lo, v80, v52
	v_mov_b32_e32 v124, v126
	v_mad_u64_u32 v[128:129], null, s9, v130, v[122:123]
	v_add_co_ci_u32_e32 v53, vcc_lo, v81, v53, vcc_lo
	v_add_co_u32 v54, vcc_lo, v80, v54
	v_add_co_ci_u32_e32 v55, vcc_lo, v81, v55, vcc_lo
	v_mad_u64_u32 v[129:130], null, s9, v131, v[124:125]
	v_mov_b32_e32 v124, v128
	s_clause 0x1
	global_store_b128 v[52:53], v[118:121], off
	global_store_b128 v[54:55], v[110:113], off
	v_add_nc_u32_e32 v122, 0x36b, v206
	v_lshlrev_b64 v[126:127], 4, v[207:208]
	v_add_nc_u32_e32 v113, 0x947, v206
	v_lshlrev_b64 v[53:54], 4, v[123:124]
	scratch_load_b32 v123, off, off offset:56 ; 4-byte Folded Reload
	v_mad_u64_u32 v[130:131], null, s8, v122, 0
	v_add_co_u32 v126, vcc_lo, v80, v126
	v_add_co_ci_u32_e32 v127, vcc_lo, v81, v127, vcc_lo
	s_delay_alu instid0(VALU_DEP_3)
	v_mov_b32_e32 v52, v131
	global_store_b128 v[126:127], v[106:109], off
	v_mov_b32_e32 v126, v129
	v_mad_u64_u32 v[109:110], null, s8, v113, 0
	v_mad_u64_u32 v[106:107], null, s9, v122, v[52:53]
	v_add_nc_u32_e32 v122, 0x659, v206
	v_add_co_u32 v52, vcc_lo, v80, v53
	v_add_co_ci_u32_e32 v53, vcc_lo, v81, v54, vcc_lo
	s_delay_alu instid0(VALU_DEP_3) | instskip(SKIP_2) | instid1(VALU_DEP_2)
	v_mad_u64_u32 v[107:108], null, s8, v122, 0
	v_mov_b32_e32 v131, v106
	v_lshlrev_b64 v[54:55], 4, v[125:126]
	v_lshlrev_b64 v[118:119], 4, v[130:131]
	s_delay_alu instid0(VALU_DEP_4) | instskip(NEXT) | instid1(VALU_DEP_3)
	v_mov_b32_e32 v106, v108
	v_add_co_u32 v54, vcc_lo, v80, v54
	v_mov_b32_e32 v108, v110
	v_add_co_ci_u32_e32 v55, vcc_lo, v81, v55, vcc_lo
	s_delay_alu instid0(VALU_DEP_4) | instskip(NEXT) | instid1(VALU_DEP_3)
	v_mad_u64_u32 v[120:121], null, s9, v122, v[106:107]
	v_mad_u64_u32 v[121:122], null, s9, v113, v[108:109]
	s_delay_alu instid0(VALU_DEP_2) | instskip(NEXT) | instid1(VALU_DEP_2)
	v_mov_b32_e32 v108, v120
	v_mov_b32_e32 v110, v121
	s_waitcnt vmcnt(0)
	v_mad_u64_u32 v[111:112], null, s8, v123, 0
	s_delay_alu instid0(VALU_DEP_1) | instskip(SKIP_2) | instid1(VALU_DEP_3)
	v_mov_b32_e32 v106, v112
	v_add_co_u32 v112, vcc_lo, v80, v118
	v_add_co_ci_u32_e32 v113, vcc_lo, v81, v119, vcc_lo
	v_mad_u64_u32 v[118:119], null, s9, v123, v[106:107]
	scratch_load_b32 v106, off, off offset:48 ; 4-byte Folded Reload
	s_clause 0x2
	global_store_b128 v[52:53], v[114:117], off
	global_store_b128 v[54:55], v[48:51], off
	;; [unrolled: 1-line block ×3, first 2 shown]
	scratch_load_b32 v105, off, off offset:52 ; 4-byte Folded Reload
	v_lshlrev_b64 v[48:49], 4, v[107:108]
	v_lshlrev_b64 v[50:51], 4, v[109:110]
	v_mov_b32_e32 v112, v118
	s_delay_alu instid0(VALU_DEP_3) | instskip(NEXT) | instid1(VALU_DEP_2)
	v_add_co_u32 v48, vcc_lo, v80, v48
	v_lshlrev_b64 v[53:54], 4, v[111:112]
	v_add_co_ci_u32_e32 v49, vcc_lo, v81, v49, vcc_lo
	v_add_co_u32 v50, vcc_lo, v80, v50
	v_add_co_ci_u32_e32 v51, vcc_lo, v81, v51, vcc_lo
	global_store_b128 v[48:49], v[94:97], off
	s_waitcnt vmcnt(1)
	v_mad_u64_u32 v[119:120], null, s8, v106, 0
	s_delay_alu instid0(VALU_DEP_1) | instskip(NEXT) | instid1(VALU_DEP_1)
	v_mov_b32_e32 v52, v120
	v_mad_u64_u32 v[102:103], null, s9, v106, v[52:53]
	v_add_co_u32 v52, vcc_lo, v80, v53
	v_add_co_ci_u32_e32 v53, vcc_lo, v81, v54, vcc_lo
	s_delay_alu instid0(VALU_DEP_3)
	v_mov_b32_e32 v120, v102
	scratch_load_b32 v102, off, off offset:44 ; 4-byte Folded Reload
	s_waitcnt vmcnt(1)
	v_mad_u64_u32 v[103:104], null, s8, v105, 0
	s_clause 0x1
	global_store_b128 v[50:51], v[90:93], off
	global_store_b128 v[52:53], v[98:101], off
	v_lshlrev_b64 v[49:50], 4, v[119:120]
	scratch_load_b32 v94, off, off offset:40 ; 4-byte Folded Reload
	v_mov_b32_e32 v48, v104
	s_delay_alu instid0(VALU_DEP_1) | instskip(SKIP_2) | instid1(VALU_DEP_3)
	v_mad_u64_u32 v[51:52], null, s9, v105, v[48:49]
	v_add_co_u32 v49, vcc_lo, v80, v49
	v_add_co_ci_u32_e32 v50, vcc_lo, v81, v50, vcc_lo
	v_mov_b32_e32 v104, v51
	global_store_b128 v[49:50], v[44:47], off
	v_lshlrev_b64 v[45:46], 4, v[103:104]
	s_waitcnt vmcnt(1)
	v_mad_u64_u32 v[54:55], null, s8, v102, 0
	s_waitcnt vmcnt(0)
	v_mad_u64_u32 v[90:91], null, s8, v94, 0
	s_delay_alu instid0(VALU_DEP_2)
	v_mov_b32_e32 v48, v55
	scratch_load_b32 v55, off, off offset:36 ; 4-byte Folded Reload
	v_mad_u64_u32 v[92:93], null, s9, v102, v[48:49]
	v_mov_b32_e32 v44, v91
	scratch_load_b32 v93, off, off offset:28 ; 4-byte Folded Reload
	s_waitcnt vmcnt(1)
	v_mad_u64_u32 v[52:53], null, s8, v55, 0
	s_delay_alu instid0(VALU_DEP_1) | instskip(NEXT) | instid1(VALU_DEP_1)
	v_mov_b32_e32 v48, v53
	v_mad_u64_u32 v[49:50], null, s9, v55, v[48:49]
	v_mov_b32_e32 v55, v92
	v_mad_u64_u32 v[47:48], null, s9, v94, v[44:45]
	scratch_load_b32 v92, off, off offset:24 ; 4-byte Folded Reload
	v_add_co_u32 v44, vcc_lo, v80, v45
	v_lshlrev_b64 v[50:51], 4, v[54:55]
	v_mov_b32_e32 v53, v49
	v_add_co_ci_u32_e32 v45, vcc_lo, v81, v46, vcc_lo
	v_mov_b32_e32 v91, v47
	scratch_load_b32 v94, off, off offset:32 ; 4-byte Folded Reload
	v_add_co_u32 v48, vcc_lo, v80, v50
	v_add_co_ci_u32_e32 v49, vcc_lo, v81, v51, vcc_lo
	v_lshlrev_b64 v[50:51], 4, v[52:53]
	v_lshlrev_b64 v[52:53], 4, v[90:91]
	s_waitcnt vmcnt(2)
	v_mad_u64_u32 v[54:55], null, s8, v93, 0
	s_delay_alu instid0(VALU_DEP_3) | instskip(NEXT) | instid1(VALU_DEP_4)
	v_add_co_u32 v50, vcc_lo, v80, v50
	v_add_co_ci_u32_e32 v51, vcc_lo, v81, v51, vcc_lo
	s_delay_alu instid0(VALU_DEP_4)
	v_add_co_u32 v52, vcc_lo, v80, v52
	v_add_co_ci_u32_e32 v53, vcc_lo, v81, v53, vcc_lo
	s_clause 0x3
	global_store_b128 v[44:45], v[86:89], off
	global_store_b128 v[48:49], v[76:79], off
	;; [unrolled: 1-line block ×4, first 2 shown]
	s_clause 0x2
	scratch_load_b32 v74, off, off offset:16
	scratch_load_b32 v75, off, off offset:20
	;; [unrolled: 1-line block ×3, first 2 shown]
	s_waitcnt vmcnt(4)
	v_mad_u64_u32 v[46:47], null, s8, v92, 0
	s_delay_alu instid0(VALU_DEP_1) | instskip(SKIP_1) | instid1(VALU_DEP_1)
	v_mad_u64_u32 v[90:91], null, s9, v92, v[47:48]
	v_mov_b32_e32 v47, v55
	v_mad_u64_u32 v[91:92], null, s9, v93, v[47:48]
	s_waitcnt vmcnt(3)
	v_mad_u64_u32 v[92:93], null, s8, v94, 0
	s_delay_alu instid0(VALU_DEP_4) | instskip(NEXT) | instid1(VALU_DEP_3)
	v_mov_b32_e32 v47, v90
	v_mov_b32_e32 v55, v91
	s_delay_alu instid0(VALU_DEP_2) | instskip(NEXT) | instid1(VALU_DEP_4)
	v_lshlrev_b64 v[44:45], 4, v[46:47]
	v_mov_b32_e32 v46, v93
	s_waitcnt vmcnt(2)
	v_mad_u64_u32 v[47:48], null, s8, v74, 0
	v_lshlrev_b64 v[49:50], 4, v[54:55]
	s_delay_alu instid0(VALU_DEP_4)
	v_add_co_u32 v44, vcc_lo, v80, v44
	v_add_co_ci_u32_e32 v45, vcc_lo, v81, v45, vcc_lo
	s_waitcnt vmcnt(0)
	v_mul_hi_u32 v72, 0x57619f1, v73
	v_mad_u64_u32 v[51:52], null, s9, v94, v[46:47]
	v_mad_u64_u32 v[52:53], null, s8, v75, 0
	v_mov_b32_e32 v46, v48
	v_add_co_u32 v48, vcc_lo, v80, v49
	v_add_co_ci_u32_e32 v49, vcc_lo, v81, v50, vcc_lo
	v_mov_b32_e32 v93, v51
	s_delay_alu instid0(VALU_DEP_4)
	v_mad_u64_u32 v[54:55], null, s9, v74, v[46:47]
	s_clause 0x1
	global_store_b128 v[44:45], v[40:43], off
	global_store_b128 v[48:49], v[68:71], off
	v_lshrrev_b32_e32 v46, 4, v72
	v_lshlrev_b64 v[41:42], 4, v[92:93]
	v_mov_b32_e32 v40, v53
	s_delay_alu instid0(VALU_DEP_3) | instskip(SKIP_1) | instid1(VALU_DEP_3)
	v_mad_u32_u24 v55, 0xbb8, v46, v73
	v_mov_b32_e32 v48, v54
	v_mad_u64_u32 v[43:44], null, s9, v75, v[40:41]
	v_add_co_u32 v40, vcc_lo, v80, v41
	s_delay_alu instid0(VALU_DEP_4) | instskip(SKIP_4) | instid1(VALU_DEP_4)
	v_mad_u64_u32 v[44:45], null, s8, v55, 0
	v_add_nc_u32_e32 v54, 0x2ee, v55
	v_lshlrev_b64 v[46:47], 4, v[47:48]
	v_mov_b32_e32 v53, v43
	v_add_co_ci_u32_e32 v41, vcc_lo, v81, v42, vcc_lo
	v_mad_u64_u32 v[48:49], null, s8, v54, 0
	v_mov_b32_e32 v42, v45
	v_add_co_u32 v45, vcc_lo, v80, v46
	v_lshlrev_b64 v[50:51], 4, v[52:53]
	v_add_co_ci_u32_e32 v46, vcc_lo, v81, v47, vcc_lo
	s_clause 0x1
	global_store_b128 v[40:41], v[60:63], off
	global_store_b128 v[45:46], v[56:59], off
	v_mov_b32_e32 v40, v49
	v_add_co_u32 v41, vcc_lo, v80, v50
	v_mad_u64_u32 v[52:53], null, s9, v55, v[42:43]
	v_add_co_ci_u32_e32 v42, vcc_lo, v81, v51, vcc_lo
	s_delay_alu instid0(VALU_DEP_3)
	v_mad_u64_u32 v[46:47], null, s9, v54, v[40:41]
	v_add_nc_u32_e32 v50, 0x5dc, v55
	v_add_nc_u32_e32 v51, 0x8ca, v55
	v_mov_b32_e32 v45, v52
	global_store_b128 v[41:42], v[64:67], off
	v_add_nc_u32_e32 v52, 0xbb8, v55
	v_mad_u64_u32 v[42:43], null, s8, v50, 0
	v_mov_b32_e32 v49, v46
	v_lshlrev_b64 v[40:41], 4, v[44:45]
	v_mad_u64_u32 v[44:45], null, s8, v51, 0
	s_delay_alu instid0(VALU_DEP_3) | instskip(NEXT) | instid1(VALU_DEP_3)
	v_lshlrev_b64 v[46:47], 4, v[48:49]
	v_add_co_u32 v40, vcc_lo, v80, v40
	s_delay_alu instid0(VALU_DEP_4) | instskip(NEXT) | instid1(VALU_DEP_4)
	v_add_co_ci_u32_e32 v41, vcc_lo, v81, v41, vcc_lo
	v_mad_u64_u32 v[48:49], null, s9, v50, v[43:44]
	s_delay_alu instid0(VALU_DEP_4) | instskip(SKIP_2) | instid1(VALU_DEP_4)
	v_mad_u64_u32 v[49:50], null, s9, v51, v[45:46]
	v_mad_u64_u32 v[50:51], null, s8, v52, 0
	v_add_co_u32 v46, vcc_lo, v80, v46
	v_mov_b32_e32 v43, v48
	v_add_co_ci_u32_e32 v47, vcc_lo, v81, v47, vcc_lo
	v_mov_b32_e32 v45, v49
	scratch_load_b32 v49, off, off offset:8 ; 4-byte Folded Reload
	global_store_b128 v[40:41], v[20:23], off
	v_lshlrev_b64 v[21:22], 4, v[42:43]
	v_mov_b32_e32 v20, v51
	global_store_b128 v[46:47], v[36:39], off
	v_lshlrev_b64 v[36:37], 4, v[44:45]
	v_mad_u64_u32 v[38:39], null, s9, v52, v[20:21]
	v_add_co_u32 v20, vcc_lo, v80, v21
	v_add_co_ci_u32_e32 v21, vcc_lo, v81, v22, vcc_lo
	s_delay_alu instid0(VALU_DEP_4) | instskip(NEXT) | instid1(VALU_DEP_4)
	v_add_co_u32 v22, vcc_lo, v80, v36
	v_mov_b32_e32 v51, v38
	global_store_b128 v[20:21], v[32:35], off
	v_lshlrev_b64 v[20:21], 4, v[50:51]
	s_waitcnt vmcnt(0)
	v_mul_hi_u32 v48, 0x57619f1, v49
	s_delay_alu instid0(VALU_DEP_1) | instskip(NEXT) | instid1(VALU_DEP_1)
	v_lshrrev_b32_e32 v23, 4, v48
	v_mad_u32_u24 v39, 0xbb8, v23, v49
	v_add_co_ci_u32_e32 v23, vcc_lo, v81, v37, vcc_lo
	v_add_co_u32 v20, vcc_lo, v80, v20
	s_delay_alu instid0(VALU_DEP_3)
	v_mad_u64_u32 v[36:37], null, s8, v39, 0
	v_add_nc_u32_e32 v35, 0x5dc, v39
	v_add_nc_u32_e32 v34, 0x2ee, v39
	global_store_b128 v[22:23], v[28:31], off
	v_add_nc_u32_e32 v41, 0xbb8, v39
	v_add_co_ci_u32_e32 v21, vcc_lo, v81, v21, vcc_lo
	v_mad_u64_u32 v[29:30], null, s8, v35, 0
	v_mov_b32_e32 v28, v37
	v_mad_u64_u32 v[22:23], null, s8, v34, 0
	global_store_b128 v[20:21], v[24:27], off
	v_mad_u64_u32 v[31:32], null, s9, v39, v[28:29]
	v_add_nc_u32_e32 v28, 0x8ca, v39
	v_mad_u64_u32 v[32:33], null, s9, v34, v[23:24]
	v_mov_b32_e32 v23, v30
	s_delay_alu instid0(VALU_DEP_3) | instskip(SKIP_1) | instid1(VALU_DEP_3)
	v_mad_u64_u32 v[33:34], null, s8, v28, 0
	v_mov_b32_e32 v37, v31
	v_mad_u64_u32 v[38:39], null, s9, v35, v[23:24]
	v_mov_b32_e32 v23, v32
	;; [unrolled: 2-line block ×3, first 2 shown]
	v_lshlrev_b64 v[24:25], 4, v[36:37]
	v_mov_b32_e32 v30, v38
	s_delay_alu instid0(VALU_DEP_3) | instskip(SKIP_4) | instid1(VALU_DEP_3)
	v_mad_u64_u32 v[26:27], null, s9, v28, v[20:21]
	v_lshlrev_b64 v[21:22], 4, v[22:23]
	v_mov_b32_e32 v20, v40
	v_add_co_u32 v24, vcc_lo, v80, v24
	v_add_co_ci_u32_e32 v25, vcc_lo, v81, v25, vcc_lo
	v_mad_u64_u32 v[27:28], null, s9, v41, v[20:21]
	v_lshlrev_b64 v[28:29], 4, v[29:30]
	v_mov_b32_e32 v34, v26
	v_add_co_u32 v20, vcc_lo, v80, v21
	v_add_co_ci_u32_e32 v21, vcc_lo, v81, v22, vcc_lo
	v_mov_b32_e32 v40, v27
	s_delay_alu instid0(VALU_DEP_4) | instskip(SKIP_2) | instid1(VALU_DEP_4)
	v_lshlrev_b64 v[22:23], 4, v[33:34]
	v_add_co_u32 v26, vcc_lo, v80, v28
	v_add_co_ci_u32_e32 v27, vcc_lo, v81, v29, vcc_lo
	v_lshlrev_b64 v[28:29], 4, v[39:40]
	s_delay_alu instid0(VALU_DEP_4) | instskip(SKIP_1) | instid1(VALU_DEP_3)
	v_add_co_u32 v22, vcc_lo, v80, v22
	v_add_co_ci_u32_e32 v23, vcc_lo, v81, v23, vcc_lo
	v_add_co_u32 v28, vcc_lo, v80, v28
	s_delay_alu instid0(VALU_DEP_4)
	v_add_co_ci_u32_e32 v29, vcc_lo, v81, v29, vcc_lo
	s_clause 0x4
	global_store_b128 v[24:25], v[0:3], off
	global_store_b128 v[20:21], v[16:19], off
	;; [unrolled: 1-line block ×5, first 2 shown]
.LBB0_15:
	s_nop 0
	s_sendmsg sendmsg(MSG_DEALLOC_VGPRS)
	s_endpgm
	.section	.rodata,"a",@progbits
	.p2align	6, 0x0
	.amdhsa_kernel fft_rtc_fwd_len3750_factors_3_5_5_10_5_wgs_125_tpt_125_halfLds_dp_ip_CI_sbrr_dirReg
		.amdhsa_group_segment_fixed_size 0
		.amdhsa_private_segment_fixed_size 88
		.amdhsa_kernarg_size 88
		.amdhsa_user_sgpr_count 15
		.amdhsa_user_sgpr_dispatch_ptr 0
		.amdhsa_user_sgpr_queue_ptr 0
		.amdhsa_user_sgpr_kernarg_segment_ptr 1
		.amdhsa_user_sgpr_dispatch_id 0
		.amdhsa_user_sgpr_private_segment_size 0
		.amdhsa_wavefront_size32 1
		.amdhsa_uses_dynamic_stack 0
		.amdhsa_enable_private_segment 1
		.amdhsa_system_sgpr_workgroup_id_x 1
		.amdhsa_system_sgpr_workgroup_id_y 0
		.amdhsa_system_sgpr_workgroup_id_z 0
		.amdhsa_system_sgpr_workgroup_info 0
		.amdhsa_system_vgpr_workitem_id 0
		.amdhsa_next_free_vgpr 256
		.amdhsa_next_free_sgpr 23
		.amdhsa_reserve_vcc 1
		.amdhsa_float_round_mode_32 0
		.amdhsa_float_round_mode_16_64 0
		.amdhsa_float_denorm_mode_32 3
		.amdhsa_float_denorm_mode_16_64 3
		.amdhsa_dx10_clamp 1
		.amdhsa_ieee_mode 1
		.amdhsa_fp16_overflow 0
		.amdhsa_workgroup_processor_mode 1
		.amdhsa_memory_ordered 1
		.amdhsa_forward_progress 0
		.amdhsa_shared_vgpr_count 0
		.amdhsa_exception_fp_ieee_invalid_op 0
		.amdhsa_exception_fp_denorm_src 0
		.amdhsa_exception_fp_ieee_div_zero 0
		.amdhsa_exception_fp_ieee_overflow 0
		.amdhsa_exception_fp_ieee_underflow 0
		.amdhsa_exception_fp_ieee_inexact 0
		.amdhsa_exception_int_div_zero 0
	.end_amdhsa_kernel
	.text
.Lfunc_end0:
	.size	fft_rtc_fwd_len3750_factors_3_5_5_10_5_wgs_125_tpt_125_halfLds_dp_ip_CI_sbrr_dirReg, .Lfunc_end0-fft_rtc_fwd_len3750_factors_3_5_5_10_5_wgs_125_tpt_125_halfLds_dp_ip_CI_sbrr_dirReg
                                        ; -- End function
	.section	.AMDGPU.csdata,"",@progbits
; Kernel info:
; codeLenInByte = 27788
; NumSgprs: 25
; NumVgprs: 256
; ScratchSize: 88
; MemoryBound: 1
; FloatMode: 240
; IeeeMode: 1
; LDSByteSize: 0 bytes/workgroup (compile time only)
; SGPRBlocks: 3
; VGPRBlocks: 31
; NumSGPRsForWavesPerEU: 25
; NumVGPRsForWavesPerEU: 256
; Occupancy: 5
; WaveLimiterHint : 1
; COMPUTE_PGM_RSRC2:SCRATCH_EN: 1
; COMPUTE_PGM_RSRC2:USER_SGPR: 15
; COMPUTE_PGM_RSRC2:TRAP_HANDLER: 0
; COMPUTE_PGM_RSRC2:TGID_X_EN: 1
; COMPUTE_PGM_RSRC2:TGID_Y_EN: 0
; COMPUTE_PGM_RSRC2:TGID_Z_EN: 0
; COMPUTE_PGM_RSRC2:TIDIG_COMP_CNT: 0
	.text
	.p2alignl 7, 3214868480
	.fill 96, 4, 3214868480
	.type	__hip_cuid_dd21754fb1f291fb,@object ; @__hip_cuid_dd21754fb1f291fb
	.section	.bss,"aw",@nobits
	.globl	__hip_cuid_dd21754fb1f291fb
__hip_cuid_dd21754fb1f291fb:
	.byte	0                               ; 0x0
	.size	__hip_cuid_dd21754fb1f291fb, 1

	.ident	"AMD clang version 19.0.0git (https://github.com/RadeonOpenCompute/llvm-project roc-6.4.0 25133 c7fe45cf4b819c5991fe208aaa96edf142730f1d)"
	.section	".note.GNU-stack","",@progbits
	.addrsig
	.addrsig_sym __hip_cuid_dd21754fb1f291fb
	.amdgpu_metadata
---
amdhsa.kernels:
  - .args:
      - .actual_access:  read_only
        .address_space:  global
        .offset:         0
        .size:           8
        .value_kind:     global_buffer
      - .offset:         8
        .size:           8
        .value_kind:     by_value
      - .actual_access:  read_only
        .address_space:  global
        .offset:         16
        .size:           8
        .value_kind:     global_buffer
      - .actual_access:  read_only
        .address_space:  global
        .offset:         24
        .size:           8
        .value_kind:     global_buffer
      - .offset:         32
        .size:           8
        .value_kind:     by_value
      - .actual_access:  read_only
        .address_space:  global
        .offset:         40
        .size:           8
        .value_kind:     global_buffer
      - .actual_access:  read_only
        .address_space:  global
        .offset:         48
        .size:           8
        .value_kind:     global_buffer
      - .offset:         56
        .size:           4
        .value_kind:     by_value
      - .actual_access:  read_only
        .address_space:  global
        .offset:         64
        .size:           8
        .value_kind:     global_buffer
      - .actual_access:  read_only
        .address_space:  global
        .offset:         72
        .size:           8
        .value_kind:     global_buffer
      - .address_space:  global
        .offset:         80
        .size:           8
        .value_kind:     global_buffer
    .group_segment_fixed_size: 0
    .kernarg_segment_align: 8
    .kernarg_segment_size: 88
    .language:       OpenCL C
    .language_version:
      - 2
      - 0
    .max_flat_workgroup_size: 125
    .name:           fft_rtc_fwd_len3750_factors_3_5_5_10_5_wgs_125_tpt_125_halfLds_dp_ip_CI_sbrr_dirReg
    .private_segment_fixed_size: 88
    .sgpr_count:     25
    .sgpr_spill_count: 0
    .symbol:         fft_rtc_fwd_len3750_factors_3_5_5_10_5_wgs_125_tpt_125_halfLds_dp_ip_CI_sbrr_dirReg.kd
    .uniform_work_group_size: 1
    .uses_dynamic_stack: false
    .vgpr_count:     256
    .vgpr_spill_count: 21
    .wavefront_size: 32
    .workgroup_processor_mode: 1
amdhsa.target:   amdgcn-amd-amdhsa--gfx1100
amdhsa.version:
  - 1
  - 2
...

	.end_amdgpu_metadata
